;; amdgpu-corpus repo=ROCm/aiter kind=harvested arch=n/a opt=n/a

/root/src/amdgpu-assembly/repos/ROCm__aiter/hsa/gfx942/fmoe_2stages/fmoe_stage1_bf16_pertokenFp8_blockscale_g1u1_96x128_pf3.co:	file format elf64-amdgpu

Disassembly of section .text:

0000000000002a00 <_ZN5aiter55fmoe_stage1_bf16_pertokenFp8_blockscale_g1u1_96x128_pf3E>:
	s_and_b32 s1, s1, 0xffff                                   // 000000002A00: 8601FF01 0000FFFF
	s_load_dwordx2 s[8:9], s[0:1], 0x0                         // 000000002A08: C0060200 00000000
	s_load_dwordx2 s[20:21], s[0:1], 0x10                      // 000000002A10: C0060500 00000010
	s_load_dwordx2 s[24:25], s[0:1], 0x20                      // 000000002A18: C0060600 00000020
	s_load_dwordx2 s[48:49], s[0:1], 0x30                      // 000000002A20: C0060C00 00000030
	s_load_dwordx2 s[28:29], s[0:1], 0x40                      // 000000002A28: C0060700 00000040
	s_load_dwordx2 s[32:33], s[0:1], 0x50                      // 000000002A30: C0060800 00000050
	s_load_dwordx2 s[36:37], s[0:1], 0x60                      // 000000002A38: C0060900 00000060
	s_load_dwordx2 s[12:13], s[0:1], 0x70                      // 000000002A40: C0060300 00000070
	s_load_dwordx2 s[44:45], s[0:1], 0x80                      // 000000002A48: C0060B00 00000080
	s_mov_b32 s89, 0                                           // 000000002A50: BED90080
	s_load_dword s64, s[0:1], 0x90                             // 000000002A54: C0021000 00000090
	s_load_dword s65, s[0:1], 0xa0                             // 000000002A5C: C0021040 000000A0
	s_load_dword s66, s[0:1], 0xb0                             // 000000002A64: C0021080 000000B0
	s_load_dword s67, s[0:1], 0xc0                             // 000000002A6C: C00210C0 000000C0
	s_load_dword s68, s[0:1], 0xd0                             // 000000002A74: C0021100 000000D0
	s_load_dword s69, s[0:1], 0xe0                             // 000000002A7C: C0021140 000000E0
	s_load_dword s71, s[0:1], 0xf0                             // 000000002A84: C00211C0 000000F0
	s_load_dword s72, s[0:1], 0x100                            // 000000002A8C: C0021200 00000100
	s_load_dword s74, s[0:1], 0x110                            // 000000002A94: C0021280 00000110
	s_load_dword s76, s[0:1], 0x120                            // 000000002A9C: C0021300 00000120
	s_load_dword s56, s[0:1], 0x130                            // 000000002AA4: C0020E00 00000130
	s_load_dword s88, s[0:1], 0x140                            // 000000002AAC: C0021600 00000140
	s_load_dword s89, s[0:1], 0x150                            // 000000002AB4: C0021640 00000150
	v_lshrrev_b32_e32 v1, 10, v0                               // 000000002ABC: 2002008A
	v_lshrrev_b32_e32 v2, 10, v1                               // 000000002AC0: 2004028A
	v_and_b32_e32 v2, 0x3ff, v2                                // 000000002AC4: 260404FF 000003FF
	v_and_b32_e32 v1, 0x3ff, v1                                // 000000002ACC: 260202FF 000003FF
	v_and_b32_e32 v0, 0x3ff, v0                                // 000000002AD4: 260000FF 000003FF
	v_lshrrev_b32_e32 v3, 6, v0                                // 000000002ADC: 20060086
	v_and_b32_e32 v0, 63, v0                                   // 000000002AE0: 260000BF
	s_mov_b32 s2, s2                                           // 000000002AE4: BE820002
	s_mov_b32 s3, s3                                           // 000000002AE8: BE830003
	s_mov_b32 s4, s4                                           // 000000002AEC: BE840004
	v_readfirstlane_b32 s7, v3                                 // 000000002AF0: 7E0E0503
	s_waitcnt lgkmcnt(0)                                       // 000000002AF4: BF8CC07F
	s_and_b32 s49, s49, 0xffff                                 // 000000002AF8: 8631FF31 0000FFFF
	s_load_dword s48, s[48:49], 0x0                            // 000000002B00: C0020C18 00000000
	s_and_b32 s45, s45, 0xffff                                 // 000000002B08: 862DFF2D 0000FFFF
	s_and_b32 s9, s9, 0xffff                                   // 000000002B10: 8609FF09 0000FFFF
	s_mul_i32 s60, s66, s68                                    // 000000002B18: 923C4442
	s_mul_i32 s61, s66, 4                                      // 000000002B1C: 923D8442
	s_mov_b32 s22, s60                                         // 000000002B20: BE96003C
	s_mov_b32 s26, -16                                         // 000000002B24: BE9A00D0
	s_mov_b32 s30, s61                                         // 000000002B28: BE9E003D
	s_mov_b32 s14, 0x180                                       // 000000002B2C: BE8E00FF 00000180
	s_mov_b32 s38, -16                                         // 000000002B34: BEA600D0
	s_mov_b32 s10, -16                                         // 000000002B38: BE8A00D0
	s_lshr_b32 s60, s64, 7                                     // 000000002B3C: 8F3C8740
	s_mul_i32 s61, s60, 4                                      // 000000002B40: 923D843C
	s_lshr_b32 s60, s65, 7                                     // 000000002B44: 8F3C8741
	s_add_u32 s60, s60, 1                                      // 000000002B48: 803C813C
	s_mul_i32 s60, s60, s61                                    // 000000002B4C: 923C3D3C
	s_mov_b32 s34, s60                                         // 000000002B50: BEA2003C
	s_mov_b32 s23, 0x20000                                     // 000000002B54: BE9700FF 00020000
	s_mov_b32 s27, 0x20000                                     // 000000002B5C: BE9B00FF 00020000
	s_mov_b32 s31, 0x20000                                     // 000000002B64: BE9F00FF 00020000
	s_mov_b32 s35, 0x20000                                     // 000000002B6C: BEA300FF 00020000
	s_mov_b32 s15, 0x20000                                     // 000000002B74: BE8F00FF 00020000
	s_mov_b32 s39, 0x20000                                     // 000000002B7C: BEA700FF 00020000
	s_mov_b32 s11, 0x20000                                     // 000000002B84: BE8B00FF 00020000
	s_and_b32 s21, s21, 0xffff                                 // 000000002B8C: 8615FF15 0000FFFF
	s_and_b32 s25, s25, 0xffff                                 // 000000002B94: 8619FF19 0000FFFF
	s_and_b32 s29, s29, 0xffff                                 // 000000002B9C: 861DFF1D 0000FFFF
	s_and_b32 s33, s33, 0xffff                                 // 000000002BA4: 8621FF21 0000FFFF
	s_and_b32 s13, s13, 0xffff                                 // 000000002BAC: 860DFF0D 0000FFFF
	s_and_b32 s37, s37, 0xffff                                 // 000000002BB4: 8625FF25 0000FFFF
	s_or_b32 s21, s21, 0x40000                                 // 000000002BBC: 8715FF15 00040000
	s_or_b32 s25, s25, 0x40000                                 // 000000002BC4: 8719FF19 00040000
	s_or_b32 s29, s29, 0x40000                                 // 000000002BCC: 871DFF1D 00040000
	s_or_b32 s33, s33, 0x40000                                 // 000000002BD4: 8721FF21 00040000
	s_or_b32 s13, s13, 0x40000                                 // 000000002BDC: 870DFF0D 00040000
	s_or_b32 s37, s37, 0x40000                                 // 000000002BE4: 8725FF25 00040000
	v_accvgpr_write_b32 a143, 0                                // 000000002BEC: D3D9408F 18000080
	v_mov_b32_e32 v163, 0                                      // 000000002BF4: 7F460280
	s_waitcnt lgkmcnt(0)                                       // 000000002BF8: BF8CC07F
	s_mul_i32 s60, s3, 0x60                                    // 000000002BFC: 923CFF03 00000060
	s_cmp_lt_i32 s60, s48                                      // 000000002C04: BF04303C
	s_cbranch_scc0 label_38D8                                  // 000000002C08: BF843852
	s_mov_b32 s80, 0                                           // 000000002C0C: BED00080
	s_lshr_b32 s81, s64, s88                                   // 000000002C10: 8F515840
	s_mul_i32 s60, s3, 4                                       // 000000002C14: 923C8403
	s_add_u32 s44, s60, s44                                    // 000000002C18: 802C2C3C
	s_addc_u32 s45, 0, s45                                     // 000000002C1C: 822D2D80
	s_load_dword s5, s[44:45], 0x0                             // 000000002C20: C0020156 00000000
	s_mul_i32 s60, s3, 0x60                                    // 000000002C28: 923CFF03 00000060
	s_mul_i32 s60, 4, s60                                      // 000000002C30: 923C3C84
	s_add_u32 s12, s60, s12                                    // 000000002C34: 800C0C3C
	s_addc_u32 s13, 0, s13                                     // 000000002C38: 820D0D80
	v_and_b32_e32 v4, 15, v0                                   // 000000002C3C: 2608008F
	v_lshlrev_b32_e32 v4, 2, v4                                // 000000002C40: 24080882
	buffer_load_dword v30, v4, s[12:15], 0 offen               // 000000002C44: E0501000 80031E04
	v_add_u32_e32 v4, 64, v4                                   // 000000002C4C: 680808C0
	buffer_load_dword v31, v4, s[12:15], 0 offen               // 000000002C50: E0501000 80031F04
	v_add_u32_e32 v4, 64, v4                                   // 000000002C58: 680808C0
	buffer_load_dword v32, v4, s[12:15], 0 offen               // 000000002C5C: E0501000 80032004
	v_add_u32_e32 v4, 64, v4                                   // 000000002C64: 680808C0
	buffer_load_dword v33, v4, s[12:15], 0 offen               // 000000002C68: E0501000 80032104
	v_add_u32_e32 v4, 64, v4                                   // 000000002C70: 680808C0
	buffer_load_dword v34, v4, s[12:15], 0 offen               // 000000002C74: E0501000 80032204
	v_add_u32_e32 v4, 64, v4                                   // 000000002C7C: 680808C0
	buffer_load_dword v35, v4, s[12:15], 0 offen               // 000000002C80: E0501000 80032304
	v_add_u32_e32 v4, 64, v4                                   // 000000002C88: 680808C0
	s_mul_i32 s60, 4, s7                                       // 000000002C8C: 923C0784
	v_lshlrev_b32_e32 v4, 4, v0                                // 000000002C90: 24080084
	v_add_u32_e32 v4, s60, v4                                  // 000000002C94: 6808083C
	buffer_load_dword v3, v4, s[12:15], 0 offen                // 000000002C98: E0501000 80030304
	v_mov_b32_e32 v68, 0                                       // 000000002CA0: 7E880280
	v_mov_b32_e32 v116, 0                                      // 000000002CA4: 7EE80280
	v_mov_b32_e32 v69, 0                                       // 000000002CA8: 7E8A0280
	v_mov_b32_e32 v117, 0                                      // 000000002CAC: 7EEA0280
	v_mov_b32_e32 v70, 0                                       // 000000002CB0: 7E8C0280
	v_mov_b32_e32 v118, 0                                      // 000000002CB4: 7EEC0280
	v_mov_b32_e32 v71, 0                                       // 000000002CB8: 7E8E0280
	v_mov_b32_e32 v119, 0                                      // 000000002CBC: 7EEE0280
	v_mov_b32_e32 v72, 0                                       // 000000002CC0: 7E900280
	v_mov_b32_e32 v120, 0                                      // 000000002CC4: 7EF00280
	v_mov_b32_e32 v73, 0                                       // 000000002CC8: 7E920280
	v_mov_b32_e32 v121, 0                                      // 000000002CCC: 7EF20280
	v_mov_b32_e32 v74, 0                                       // 000000002CD0: 7E940280
	v_mov_b32_e32 v122, 0                                      // 000000002CD4: 7EF40280
	v_mov_b32_e32 v75, 0                                       // 000000002CD8: 7E960280
	v_mov_b32_e32 v123, 0                                      // 000000002CDC: 7EF60280
	v_mov_b32_e32 v76, 0                                       // 000000002CE0: 7E980280
	v_mov_b32_e32 v124, 0                                      // 000000002CE4: 7EF80280
	v_mov_b32_e32 v77, 0                                       // 000000002CE8: 7E9A0280
	v_mov_b32_e32 v125, 0                                      // 000000002CEC: 7EFA0280
	v_mov_b32_e32 v78, 0                                       // 000000002CF0: 7E9C0280
	v_mov_b32_e32 v126, 0                                      // 000000002CF4: 7EFC0280
	v_mov_b32_e32 v79, 0                                       // 000000002CF8: 7E9E0280
	v_mov_b32_e32 v127, 0                                      // 000000002CFC: 7EFE0280
	v_mov_b32_e32 v80, 0                                       // 000000002D00: 7EA00280
	v_mov_b32_e32 v128, 0                                      // 000000002D04: 7F000280
	v_mov_b32_e32 v81, 0                                       // 000000002D08: 7EA20280
	v_mov_b32_e32 v129, 0                                      // 000000002D0C: 7F020280
	v_mov_b32_e32 v82, 0                                       // 000000002D10: 7EA40280
	v_mov_b32_e32 v130, 0                                      // 000000002D14: 7F040280
	v_mov_b32_e32 v83, 0                                       // 000000002D18: 7EA60280
	v_mov_b32_e32 v131, 0                                      // 000000002D1C: 7F060280
	v_mov_b32_e32 v84, 0                                       // 000000002D20: 7EA80280
	v_mov_b32_e32 v132, 0                                      // 000000002D24: 7F080280
	v_mov_b32_e32 v85, 0                                       // 000000002D28: 7EAA0280
	v_mov_b32_e32 v133, 0                                      // 000000002D2C: 7F0A0280
	v_mov_b32_e32 v86, 0                                       // 000000002D30: 7EAC0280
	v_mov_b32_e32 v134, 0                                      // 000000002D34: 7F0C0280
	v_mov_b32_e32 v87, 0                                       // 000000002D38: 7EAE0280
	v_mov_b32_e32 v135, 0                                      // 000000002D3C: 7F0E0280
	v_mov_b32_e32 v88, 0                                       // 000000002D40: 7EB00280
	v_mov_b32_e32 v136, 0                                      // 000000002D44: 7F100280
	v_mov_b32_e32 v89, 0                                       // 000000002D48: 7EB20280
	v_mov_b32_e32 v137, 0                                      // 000000002D4C: 7F120280
	v_mov_b32_e32 v90, 0                                       // 000000002D50: 7EB40280
	v_mov_b32_e32 v138, 0                                      // 000000002D54: 7F140280
	v_mov_b32_e32 v91, 0                                       // 000000002D58: 7EB60280
	v_mov_b32_e32 v139, 0                                      // 000000002D5C: 7F160280
	v_mov_b32_e32 v92, 0                                       // 000000002D60: 7EB80280
	v_mov_b32_e32 v140, 0                                      // 000000002D64: 7F180280
	v_mov_b32_e32 v93, 0                                       // 000000002D68: 7EBA0280
	v_mov_b32_e32 v141, 0                                      // 000000002D6C: 7F1A0280
	v_mov_b32_e32 v94, 0                                       // 000000002D70: 7EBC0280
	v_mov_b32_e32 v142, 0                                      // 000000002D74: 7F1C0280
	v_mov_b32_e32 v95, 0                                       // 000000002D78: 7EBE0280
	v_mov_b32_e32 v143, 0                                      // 000000002D7C: 7F1E0280
	v_mov_b32_e32 v96, 0                                       // 000000002D80: 7EC00280
	v_mov_b32_e32 v144, 0                                      // 000000002D84: 7F200280
	v_mov_b32_e32 v97, 0                                       // 000000002D88: 7EC20280
	v_mov_b32_e32 v145, 0                                      // 000000002D8C: 7F220280
	v_mov_b32_e32 v98, 0                                       // 000000002D90: 7EC40280
	v_mov_b32_e32 v146, 0                                      // 000000002D94: 7F240280
	v_mov_b32_e32 v99, 0                                       // 000000002D98: 7EC60280
	v_mov_b32_e32 v147, 0                                      // 000000002D9C: 7F260280
	v_mov_b32_e32 v100, 0                                      // 000000002DA0: 7EC80280
	v_mov_b32_e32 v148, 0                                      // 000000002DA4: 7F280280
	v_mov_b32_e32 v101, 0                                      // 000000002DA8: 7ECA0280
	v_mov_b32_e32 v149, 0                                      // 000000002DAC: 7F2A0280
	v_mov_b32_e32 v102, 0                                      // 000000002DB0: 7ECC0280
	v_mov_b32_e32 v150, 0                                      // 000000002DB4: 7F2C0280
	v_mov_b32_e32 v103, 0                                      // 000000002DB8: 7ECE0280
	v_mov_b32_e32 v151, 0                                      // 000000002DBC: 7F2E0280
	v_mov_b32_e32 v104, 0                                      // 000000002DC0: 7ED00280
	v_mov_b32_e32 v152, 0                                      // 000000002DC4: 7F300280
	v_mov_b32_e32 v105, 0                                      // 000000002DC8: 7ED20280
	v_mov_b32_e32 v153, 0                                      // 000000002DCC: 7F320280
	v_mov_b32_e32 v106, 0                                      // 000000002DD0: 7ED40280
	v_mov_b32_e32 v154, 0                                      // 000000002DD4: 7F340280
	v_mov_b32_e32 v107, 0                                      // 000000002DD8: 7ED60280
	v_mov_b32_e32 v155, 0                                      // 000000002DDC: 7F360280
	v_mov_b32_e32 v108, 0                                      // 000000002DE0: 7ED80280
	v_mov_b32_e32 v156, 0                                      // 000000002DE4: 7F380280
	v_mov_b32_e32 v109, 0                                      // 000000002DE8: 7EDA0280
	v_mov_b32_e32 v157, 0                                      // 000000002DEC: 7F3A0280
	v_mov_b32_e32 v110, 0                                      // 000000002DF0: 7EDC0280
	v_mov_b32_e32 v158, 0                                      // 000000002DF4: 7F3C0280
	v_mov_b32_e32 v111, 0                                      // 000000002DF8: 7EDE0280
	v_mov_b32_e32 v159, 0                                      // 000000002DFC: 7F3E0280
	v_mov_b32_e32 v112, 0                                      // 000000002E00: 7EE00280
	v_mov_b32_e32 v160, 0                                      // 000000002E04: 7F400280
	v_mov_b32_e32 v113, 0                                      // 000000002E08: 7EE20280
	v_mov_b32_e32 v161, 0                                      // 000000002E0C: 7F420280
	v_mov_b32_e32 v114, 0                                      // 000000002E10: 7EE40280
	v_mov_b32_e32 v162, 0                                      // 000000002E14: 7F440280
	v_mov_b32_e32 v115, 0                                      // 000000002E18: 7EE60280
	v_mov_b32_e32 v163, 0                                      // 000000002E1C: 7F460280
	s_mul_i32 s60, s2, 0x80                                    // 000000002E20: 923CFF02 00000080
	s_cmp_eq_u32 s88, 0                                        // 000000002E28: BF068058
	s_cselect_b32 s61, 1, 4                                    // 000000002E2C: 853D8481
	s_mul_i32 s60, s60, s61                                    // 000000002E30: 923C3D3C
	s_mov_b32 s90, s8                                          // 000000002E34: BEDA0008
	s_mov_b32 s91, s9                                          // 000000002E38: BEDB0009
	s_add_u32 s8, s60, s8                                      // 000000002E3C: 8008083C
	s_addc_u32 s9, 0, s9                                       // 000000002E40: 82090980
	v_lshrrev_b32_e32 v4, 4, v0                                // 000000002E44: 20080084
	v_mul_lo_u32 v20, 34, v4                                   // 000000002E48: D2850014 000208A2
	v_and_b32_e32 v4, 15, v0                                   // 000000002E50: 2608008F
	v_mul_lo_u32 v5, 2, v4                                     // 000000002E54: D2850005 00020882
	v_add_u32_e32 v20, v5, v20                                 // 000000002E5C: 68282905
	s_mul_i32 s60, s7, 0x88                                    // 000000002E60: 923CFF07 00000088
	v_add_u32_e32 v20, s60, v20                                // 000000002E68: 6828283C
	v_lshlrev_b32_e32 v20, 2, v20                              // 000000002E6C: 24282882
	v_and_b32_e32 v4, 31, v0                                   // 000000002E70: 2608009F
	v_lshrrev_b32_e32 v4, 1, v4                                // 000000002E74: 20080881
	v_mul_lo_u32 v21, 34, v4                                   // 000000002E78: D2850015 000208A2
	v_lshrrev_b32_e32 v4, 5, v0                                // 000000002E80: 20080085
	v_mul_lo_u32 v4, 8, v4                                     // 000000002E84: D2850004 00020888
	v_add_u32_e32 v21, v21, v4                                 // 000000002E8C: 682A0915
	v_and_b32_e32 v5, 1, v0                                    // 000000002E90: 260A0081
	v_add_u32_e32 v21, v5, v21                                 // 000000002E94: 682A2B05
	s_mul_i32 s60, s7, 2                                       // 000000002E98: 923C8207
	v_add_u32_e32 v21, s60, v21                                // 000000002E9C: 682A2A3C
	v_lshlrev_b32_e32 v21, 2, v21                              // 000000002EA0: 242A2A82
	s_mul_i32 s60, s7, 0xc20                                   // 000000002EA4: 923CFF07 00000C20
	s_add_u32 s48, 0, s60                                      // 000000002EAC: 80303C80
	s_add_u32 s49, 0x3080, s48                                 // 000000002EB0: 803130FF 00003080
	s_add_u32 s50, 0x3080, s49                                 // 000000002EB8: 803231FF 00003080
	v_lshrrev_b32_e32 v4, 4, v0                                // 000000002EC0: 20080084
	v_lshlrev_b32_e32 v5, 2, v4                                // 000000002EC4: 240A0882
	v_and_b32_e32 v4, 15, v0                                   // 000000002EC8: 2608008F
	v_lshrrev_b32_e32 v6, 2, v4                                // 000000002ECC: 200C0882
	v_lshlrev_b32_e32 v6, 5, v6                                // 000000002ED0: 240C0C85
	v_add_u32_e32 v5, v6, v5                                   // 000000002ED4: 680A0B06
	v_and_b32_e32 v4, 3, v0                                    // 000000002ED8: 26080083
	v_mul_u32_u24_e32 v6, 0x308, v4                            // 000000002EDC: 100C08FF 00000308
	v_add_u32_e32 v5, v6, v5                                   // 000000002EE4: 680A0B06
	v_lshlrev_b32_e32 v2, 2, v5                                // 000000002EE8: 24040A82
	s_waitcnt lgkmcnt(0)                                       // 000000002EEC: BF8CC07F
	s_mul_i32 s60, s2, 0x80                                    // 000000002EF0: 923CFF02 00000080
	s_mul_i32 s60, s60, s69                                    // 000000002EF8: 923C453C
	s_mul_i32 s61, s5, s72                                     // 000000002EFC: 923D4805
	s_add_u32 s60, s61, s60                                    // 000000002F00: 803C3C3D
	s_add_u32 s24, s60, s24                                    // 000000002F04: 8018183C
	s_addc_u32 s25, 0, s25                                     // 000000002F08: 82191980
	s_lshr_b32 s60, s64, s88                                   // 000000002F0C: 8F3C5840
	s_mul_i32 s60, s4, s60                                     // 000000002F10: 923C3C04
	s_lshr_b32 s60, s60, 7                                     // 000000002F14: 8F3C873C
	s_mul_i32 s60, s60, 0x800                                  // 000000002F18: 923CFF3C 00000800
	s_add_u32 s24, s60, s24                                    // 000000002F20: 8018183C
	s_addc_u32 s25, 0, s25                                     // 000000002F24: 82191980
	s_lshr_b32 s60, s69, s88                                   // 000000002F28: 8F3C5845
	s_mul_i32 s60, s4, s60                                     // 000000002F2C: 923C3C04
	s_add_u32 s20, s60, s20                                    // 000000002F30: 8014143C
	s_addc_u32 s21, 0, s21                                     // 000000002F34: 82151580
	s_mul_i32 s60, s7, 16                                      // 000000002F38: 923C9007
	s_mul_i32 s60, s60, s69                                    // 000000002F3C: 923C453C
	v_lshlrev_b32_e32 v66, 4, v0                               // 000000002F40: 24840084
	v_add_u32_e32 v66, s60, v66                                // 000000002F44: 6884843C
	s_mul_i32 s60, 64, s69                                     // 000000002F48: 923C45C0
	v_add_u32_e32 v67, s60, v66                                // 000000002F4C: 6886843C
	s_mov_b32 s84, s24                                         // 000000002F50: BED40018
	s_mov_b32 s85, s25                                         // 000000002F54: BED50019
	s_mov_b32 s86, s26                                         // 000000002F58: BED6001A
	s_mov_b32 s87, s27                                         // 000000002F5C: BED7001B
	s_mul_i32 s60, s69, s65                                    // 000000002F60: 923C4145
	s_add_u32 s84, s60, s84                                    // 000000002F64: 8054543C
	s_addc_u32 s85, 0, s85                                     // 000000002F68: 82555580
	s_lshr_b32 s60, s64, 7                                     // 000000002F6C: 8F3C8740
	s_mul_i32 s61, s60, 4                                      // 000000002F70: 923D843C
	v_and_b32_e32 v22, 15, v0                                  // 000000002F74: 262C008F
	v_mul_lo_u32 v22, v22, s61                                 // 000000002F78: D2850016 00007B16
	s_lshr_b32 s60, s65, 7                                     // 000000002F80: 8F3C8741
	s_mul_i32 s60, s60, s61                                    // 000000002F84: 923C3D3C
	v_add_u32_e64 v23, v22, s60                                // 000000002F88: D1340017 00007916
	s_mul_i32 s60, s2, 1                                       // 000000002F90: 923C8102
	s_mul_i32 s60, s60, s61                                    // 000000002F94: 923C3D3C
	s_mul_i32 s61, s5, s74                                     // 000000002F98: 923D4A05
	s_add_u32 s61, s61, s60                                    // 000000002F9C: 803D3C3D
	s_add_u32 s32, s61, s32                                    // 000000002FA0: 8020203D
	s_addc_u32 s33, 0, s33                                     // 000000002FA4: 82212180
	s_lshr_b32 s60, s64, 7                                     // 000000002FA8: 8F3C8740
	s_lshr_b32 s60, s60, s88                                   // 000000002FAC: 8F3C583C
	s_mul_i32 s60, s4, s60                                     // 000000002FB0: 923C3C04
	s_mul_i32 s61, s60, 4                                      // 000000002FB4: 923D843C
	s_add_u32 s32, s61, s32                                    // 000000002FB8: 8020203D
	s_addc_u32 s33, 0, s33                                     // 000000002FBC: 82212180
	s_lshl_b32 s62, s66, 2                                     // 000000002FC0: 8E3E8242
	s_mul_i32 s62, s60, s62                                    // 000000002FC4: 923E3E3C
	s_add_u32 s28, s62, s28                                    // 000000002FC8: 801C1C3E
	s_addc_u32 s29, 0, s29                                     // 000000002FCC: 821D1D80
	s_mov_b32 s4, 4                                            // 000000002FD0: BE840084
	s_mov_b32 s57, 0x80                                        // 000000002FD4: BEB900FF 00000080
	s_mov_b32 s58, 0x800                                       // 000000002FDC: BEBA00FF 00000800
	s_mov_b32 s83, s58                                         // 000000002FE4: BED3003A
	s_mov_b32 s52, 0x7060302                                   // 000000002FE8: BEB400FF 07060302
	s_mov_b32 s53, 0x400                                       // 000000002FF0: BEB500FF 00000400
	s_mov_b32 s54, 0x40100                                     // 000000002FF8: BEB600FF 00040100
	s_mov_b32 s55, 0x4020100                                   // 000000003000: BEB700FF 04020100
	s_mov_b32 s6, 0x3fb8aa3b                                   // 000000003008: BE8600FF 3FB8AA3B
	s_mov_b32 s78, 0xbd92220c                                  // 000000003010: BECE00FF BD92220C
	s_mov_b32 s79, 0xbd92220c                                  // 000000003018: BECF00FF BD92220C
	s_mov_b32 m0, s48                                          // 000000003020: BEFC0030
	v_mov_b32_e32 v1, 0xbfcc4231                               // 000000003024: 7E0202FF BFCC4231
	v_mov_b32_e32 v17, 0xffff0000                              // 00000000302C: 7E2202FF FFFF0000
	v_mov_b32_e32 v18, 0x7fff0000                              // 000000003034: 7E2402FF 7FFF0000
	v_mov_b32_e32 v19, 0x7fff                                  // 00000000303C: 7E2602FF 00007FFF
	s_waitcnt vmcnt(0) expcnt(0) lgkmcnt(0)                    // 000000003044: BF8C0000
	v_lshrrev_b32_e32 v4, 5, v0                                // 000000003048: 20080085
	v_xor_b32_e32 v5, 1, v4                                    // 00000000304C: 2A0A0881
	v_readlane_b32 s82, v3, 0                                  // 000000003050: D2890052 00010103
	s_and_b32 s82, s82, 0xffffff                               // 000000003058: 8652FF52 00FFFFFF
	v_mul_lo_u32 v6, v5, s82                                   // 000000003060: D2850006 0000A505
	v_readlane_b32 s82, v3, 1                                  // 000000003068: D2890052 00010303
	s_and_b32 s82, s82, 0xffffff                               // 000000003070: 8652FF52 00FFFFFF
	v_mul_lo_u32 v7, v4, s82                                   // 000000003078: D2850007 0000A504
	v_add_u32_e32 v54, v6, v7                                  // 000000003080: 686C0F06
	v_mul_lo_u32 v54, v54, s68                                 // 000000003084: D2850036 00008936
	v_readlane_b32 s82, v3, 2                                  // 00000000308C: D2890052 00010503
	s_and_b32 s82, s82, 0xffffff                               // 000000003094: 8652FF52 00FFFFFF
	v_mul_lo_u32 v6, v5, s82                                   // 00000000309C: D2850006 0000A505
	v_readlane_b32 s82, v3, 3                                  // 0000000030A4: D2890052 00010703
	s_and_b32 s82, s82, 0xffffff                               // 0000000030AC: 8652FF52 00FFFFFF
	v_mul_lo_u32 v7, v4, s82                                   // 0000000030B4: D2850007 0000A504
	v_add_u32_e32 v55, v6, v7                                  // 0000000030BC: 686E0F06
	v_mul_lo_u32 v55, v55, s68                                 // 0000000030C0: D2850037 00008937
	v_readlane_b32 s82, v3, 4                                  // 0000000030C8: D2890052 00010903
	s_and_b32 s82, s82, 0xffffff                               // 0000000030D0: 8652FF52 00FFFFFF
	v_mul_lo_u32 v6, v5, s82                                   // 0000000030D8: D2850006 0000A505
	v_readlane_b32 s82, v3, 5                                  // 0000000030E0: D2890052 00010B03
	s_and_b32 s82, s82, 0xffffff                               // 0000000030E8: 8652FF52 00FFFFFF
	v_mul_lo_u32 v7, v4, s82                                   // 0000000030F0: D2850007 0000A504
	v_add_u32_e32 v56, v6, v7                                  // 0000000030F8: 68700F06
	v_mul_lo_u32 v56, v56, s68                                 // 0000000030FC: D2850038 00008938
	v_readlane_b32 s82, v3, 6                                  // 000000003104: D2890052 00010D03
	s_and_b32 s82, s82, 0xffffff                               // 00000000310C: 8652FF52 00FFFFFF
	v_mul_lo_u32 v6, v5, s82                                   // 000000003114: D2850006 0000A505
	v_readlane_b32 s82, v3, 7                                  // 00000000311C: D2890052 00010F03
	s_and_b32 s82, s82, 0xffffff                               // 000000003124: 8652FF52 00FFFFFF
	v_mul_lo_u32 v7, v4, s82                                   // 00000000312C: D2850007 0000A504
	v_add_u32_e32 v57, v6, v7                                  // 000000003134: 68720F06
	v_mul_lo_u32 v57, v57, s68                                 // 000000003138: D2850039 00008939
	v_readlane_b32 s82, v3, 8                                  // 000000003140: D2890052 00011103
	s_and_b32 s82, s82, 0xffffff                               // 000000003148: 8652FF52 00FFFFFF
	v_mul_lo_u32 v6, v5, s82                                   // 000000003150: D2850006 0000A505
	v_readlane_b32 s82, v3, 9                                  // 000000003158: D2890052 00011303
	s_and_b32 s82, s82, 0xffffff                               // 000000003160: 8652FF52 00FFFFFF
	v_mul_lo_u32 v7, v4, s82                                   // 000000003168: D2850007 0000A504
	v_add_u32_e32 v58, v6, v7                                  // 000000003170: 68740F06
	v_mul_lo_u32 v58, v58, s68                                 // 000000003174: D285003A 0000893A
	v_readlane_b32 s82, v3, 10                                 // 00000000317C: D2890052 00011503
	s_and_b32 s82, s82, 0xffffff                               // 000000003184: 8652FF52 00FFFFFF
	v_mul_lo_u32 v6, v5, s82                                   // 00000000318C: D2850006 0000A505
	v_readlane_b32 s82, v3, 11                                 // 000000003194: D2890052 00011703
	s_and_b32 s82, s82, 0xffffff                               // 00000000319C: 8652FF52 00FFFFFF
	v_mul_lo_u32 v7, v4, s82                                   // 0000000031A4: D2850007 0000A504
	v_add_u32_e32 v59, v6, v7                                  // 0000000031AC: 68760F06
	v_mul_lo_u32 v59, v59, s68                                 // 0000000031B0: D285003B 0000893B
	v_readlane_b32 s82, v3, 12                                 // 0000000031B8: D2890052 00011903
	s_and_b32 s82, s82, 0xffffff                               // 0000000031C0: 8652FF52 00FFFFFF
	v_mul_lo_u32 v6, v5, s82                                   // 0000000031C8: D2850006 0000A505
	v_readlane_b32 s82, v3, 13                                 // 0000000031D0: D2890052 00011B03
	s_and_b32 s82, s82, 0xffffff                               // 0000000031D8: 8652FF52 00FFFFFF
	v_mul_lo_u32 v7, v4, s82                                   // 0000000031E0: D2850007 0000A504
	v_add_u32_e32 v60, v6, v7                                  // 0000000031E8: 68780F06
	v_mul_lo_u32 v60, v60, s68                                 // 0000000031EC: D285003C 0000893C
	v_readlane_b32 s82, v3, 14                                 // 0000000031F4: D2890052 00011D03
	s_and_b32 s82, s82, 0xffffff                               // 0000000031FC: 8652FF52 00FFFFFF
	v_mul_lo_u32 v6, v5, s82                                   // 000000003204: D2850006 0000A505
	v_readlane_b32 s82, v3, 15                                 // 00000000320C: D2890052 00011F03
	s_and_b32 s82, s82, 0xffffff                               // 000000003214: 8652FF52 00FFFFFF
	v_mul_lo_u32 v7, v4, s82                                   // 00000000321C: D2850007 0000A504
	v_add_u32_e32 v61, v6, v7                                  // 000000003224: 687A0F06
	v_mul_lo_u32 v61, v61, s68                                 // 000000003228: D285003D 0000893D
	v_readlane_b32 s82, v3, 16                                 // 000000003230: D2890052 00012103
	s_and_b32 s82, s82, 0xffffff                               // 000000003238: 8652FF52 00FFFFFF
	v_mul_lo_u32 v6, v5, s82                                   // 000000003240: D2850006 0000A505
	v_readlane_b32 s82, v3, 17                                 // 000000003248: D2890052 00012303
	s_and_b32 s82, s82, 0xffffff                               // 000000003250: 8652FF52 00FFFFFF
	v_mul_lo_u32 v7, v4, s82                                   // 000000003258: D2850007 0000A504
	v_add_u32_e32 v62, v6, v7                                  // 000000003260: 687C0F06
	v_mul_lo_u32 v62, v62, s68                                 // 000000003264: D285003E 0000893E
	v_readlane_b32 s82, v3, 18                                 // 00000000326C: D2890052 00012503
	s_and_b32 s82, s82, 0xffffff                               // 000000003274: 8652FF52 00FFFFFF
	v_mul_lo_u32 v6, v5, s82                                   // 00000000327C: D2850006 0000A505
	v_readlane_b32 s82, v3, 19                                 // 000000003284: D2890052 00012703
	s_and_b32 s82, s82, 0xffffff                               // 00000000328C: 8652FF52 00FFFFFF
	v_mul_lo_u32 v7, v4, s82                                   // 000000003294: D2850007 0000A504
	v_add_u32_e32 v63, v6, v7                                  // 00000000329C: 687E0F06
	v_mul_lo_u32 v63, v63, s68                                 // 0000000032A0: D285003F 0000893F
	v_readlane_b32 s82, v3, 20                                 // 0000000032A8: D2890052 00012903
	s_and_b32 s82, s82, 0xffffff                               // 0000000032B0: 8652FF52 00FFFFFF
	v_mul_lo_u32 v6, v5, s82                                   // 0000000032B8: D2850006 0000A505
	v_readlane_b32 s82, v3, 21                                 // 0000000032C0: D2890052 00012B03
	s_and_b32 s82, s82, 0xffffff                               // 0000000032C8: 8652FF52 00FFFFFF
	v_mul_lo_u32 v7, v4, s82                                   // 0000000032D0: D2850007 0000A504
	v_add_u32_e32 v64, v6, v7                                  // 0000000032D8: 68800F06
	v_mul_lo_u32 v64, v64, s68                                 // 0000000032DC: D2850040 00008940
	v_readlane_b32 s82, v3, 22                                 // 0000000032E4: D2890052 00012D03
	s_and_b32 s82, s82, 0xffffff                               // 0000000032EC: 8652FF52 00FFFFFF
	v_mul_lo_u32 v6, v5, s82                                   // 0000000032F4: D2850006 0000A505
	v_readlane_b32 s82, v3, 23                                 // 0000000032FC: D2890052 00012F03
	s_and_b32 s82, s82, 0xffffff                               // 000000003304: 8652FF52 00FFFFFF
	v_mul_lo_u32 v7, v4, s82                                   // 00000000330C: D2850007 0000A504
	v_add_u32_e32 v65, v6, v7                                  // 000000003314: 68820F06
	v_mul_lo_u32 v65, v65, s68                                 // 000000003318: D2850041 00008941
	v_and_b32_e32 v4, 31, v0                                   // 000000003320: 2608009F
	v_lshlrev_b32_e32 v4, 2, v4                                // 000000003324: 24080882
	v_add_u32_e32 v54, v54, v4                                 // 000000003328: 686C0936
	v_add_u32_e32 v55, v55, v4                                 // 00000000332C: 686E0937
	v_add_u32_e32 v56, v56, v4                                 // 000000003330: 68700938
	v_add_u32_e32 v57, v57, v4                                 // 000000003334: 68720939
	v_add_u32_e32 v58, v58, v4                                 // 000000003338: 6874093A
	v_add_u32_e32 v59, v59, v4                                 // 00000000333C: 6876093B
	v_add_u32_e32 v60, v60, v4                                 // 000000003340: 6878093C
	v_add_u32_e32 v61, v61, v4                                 // 000000003344: 687A093D
	v_add_u32_e32 v62, v62, v4                                 // 000000003348: 687C093E
	v_add_u32_e32 v63, v63, v4                                 // 00000000334C: 687E093F
	v_add_u32_e32 v64, v64, v4                                 // 000000003350: 68800940
	v_add_u32_e32 v65, v65, v4                                 // 000000003354: 68820941
	v_and_b32_e32 v30, 0xffffff, v30                           // 000000003358: 263C3CFF 00FFFFFF
	v_lshlrev_b32_e32 v30, 2, v30                              // 000000003360: 243C3C82
	v_and_b32_e32 v31, 0xffffff, v31                           // 000000003364: 263E3EFF 00FFFFFF
	v_lshlrev_b32_e32 v31, 2, v31                              // 00000000336C: 243E3E82
	v_and_b32_e32 v32, 0xffffff, v32                           // 000000003370: 264040FF 00FFFFFF
	v_lshlrev_b32_e32 v32, 2, v32                              // 000000003378: 24404082
	v_and_b32_e32 v33, 0xffffff, v33                           // 00000000337C: 264242FF 00FFFFFF
	v_lshlrev_b32_e32 v33, 2, v33                              // 000000003384: 24424282
	v_and_b32_e32 v34, 0xffffff, v34                           // 000000003388: 264444FF 00FFFFFF
	v_lshlrev_b32_e32 v34, 2, v34                              // 000000003390: 24444482
	v_and_b32_e32 v35, 0xffffff, v35                           // 000000003394: 264646FF 00FFFFFF
	v_lshlrev_b32_e32 v35, 2, v35                              // 00000000339C: 24464682
	s_lshl_b32 s3, s66, 2                                      // 0000000033A0: 8E038242
	buffer_load_dword v54, s[20:23], 0 offen lds               // 0000000033A4: E0511000 80050036
	s_add_u32 m0, 0x100, s48                                   // 0000000033AC: 807C30FF 00000100
	buffer_load_dword v55, s[20:23], 0 offen lds               // 0000000033B4: E0511000 80050037
	s_add_u32 m0, 0x200, s48                                   // 0000000033BC: 807C30FF 00000200
	buffer_load_dword v56, s[20:23], 0 offen lds               // 0000000033C4: E0511000 80050038
	s_add_u32 m0, 0x300, s48                                   // 0000000033CC: 807C30FF 00000300
	buffer_load_dword v57, s[20:23], 0 offen lds               // 0000000033D4: E0511000 80050039
	s_add_u32 m0, 0x400, s48                                   // 0000000033DC: 807C30FF 00000400
	buffer_load_dword v58, s[20:23], 0 offen lds               // 0000000033E4: E0511000 8005003A
	s_add_u32 m0, 0x500, s48                                   // 0000000033EC: 807C30FF 00000500
	buffer_load_dword v59, s[20:23], 0 offen lds               // 0000000033F4: E0511000 8005003B
	s_add_u32 m0, 0x600, s48                                   // 0000000033FC: 807C30FF 00000600
	buffer_load_dword v60, s[20:23], 0 offen lds               // 000000003404: E0511000 8005003C
	s_add_u32 m0, 0x700, s48                                   // 00000000340C: 807C30FF 00000700
	buffer_load_dword v61, s[20:23], 0 offen lds               // 000000003414: E0511000 8005003D
	s_add_u32 m0, 0x800, s48                                   // 00000000341C: 807C30FF 00000800
	buffer_load_dword v62, s[20:23], 0 offen lds               // 000000003424: E0511000 8005003E
	s_add_u32 m0, 0x900, s48                                   // 00000000342C: 807C30FF 00000900
	buffer_load_dword v63, s[20:23], 0 offen lds               // 000000003434: E0511000 8005003F
	s_add_u32 m0, 0xa00, s48                                   // 00000000343C: 807C30FF 00000A00
	buffer_load_dword v64, s[20:23], 0 offen lds               // 000000003444: E0511000 80050040
	s_add_u32 m0, 0xb00, s48                                   // 00000000344C: 807C30FF 00000B00
	buffer_load_dword v65, s[20:23], 0 offen lds               // 000000003454: E0511000 80050041
	s_add_u32 m0, 0, s49                                       // 00000000345C: 807C3180
	s_add_u32 s20, s57, s20                                    // 000000003460: 80141439
	s_addc_u32 s21, 0, s21                                     // 000000003464: 82151580
	buffer_load_dword v36, v30, s[28:31], 0 offen              // 000000003468: E0501000 8007241E
	buffer_load_dword v37, v31, s[28:31], 0 offen              // 000000003470: E0501000 8007251F
	buffer_load_dword v38, v32, s[28:31], 0 offen              // 000000003478: E0501000 80072620
	buffer_load_dword v39, v33, s[28:31], 0 offen              // 000000003480: E0501000 80072721
	;; [unrolled: 1-line block ×4, first 2 shown]
	s_add_u32 s28, s3, s28                                     // 000000003498: 801C1C03
	s_addc_u32 s29, 0, s29                                     // 00000000349C: 821D1D80
	buffer_load_dwordx4 a[96:99], v66, s[24:27], 0 offen       // 0000000034A0: E05C1000 80866042
	buffer_load_dwordx4 a[100:103], v66, s[24:27], 0 offen offset:1024// 0000000034A8: E05C1400 80866442
	buffer_load_dwordx4 a[104:107], v67, s[24:27], 0 offen     // 0000000034B0: E05C1000 80866843
	buffer_load_dwordx4 a[108:111], v67, s[24:27], 0 offen offset:1024// 0000000034B8: E05C1400 80866C43
	s_add_u32 s24, s58, s24                                    // 0000000034C0: 8018183A
	s_addc_u32 s25, 0, s25                                     // 0000000034C4: 82191980
	buffer_load_dword v24, v22, s[32:35], 0 offen              // 0000000034C8: E0501000 80081816
	buffer_load_dword v54, s[20:23], 0 offen lds               // 0000000034D0: E0511000 80050036
	s_add_u32 m0, 0x100, s49                                   // 0000000034D8: 807C31FF 00000100
	buffer_load_dword v55, s[20:23], 0 offen lds               // 0000000034E0: E0511000 80050037
	s_add_u32 m0, 0x200, s49                                   // 0000000034E8: 807C31FF 00000200
	buffer_load_dword v56, s[20:23], 0 offen lds               // 0000000034F0: E0511000 80050038
	s_add_u32 m0, 0x300, s49                                   // 0000000034F8: 807C31FF 00000300
	buffer_load_dword v57, s[20:23], 0 offen lds               // 000000003500: E0511000 80050039
	s_add_u32 m0, 0x400, s49                                   // 000000003508: 807C31FF 00000400
	buffer_load_dword v58, s[20:23], 0 offen lds               // 000000003510: E0511000 8005003A
	s_add_u32 m0, 0x500, s49                                   // 000000003518: 807C31FF 00000500
	buffer_load_dword v59, s[20:23], 0 offen lds               // 000000003520: E0511000 8005003B
	s_add_u32 m0, 0x600, s49                                   // 000000003528: 807C31FF 00000600
	buffer_load_dword v60, s[20:23], 0 offen lds               // 000000003530: E0511000 8005003C
	s_add_u32 m0, 0x700, s49                                   // 000000003538: 807C31FF 00000700
	buffer_load_dword v61, s[20:23], 0 offen lds               // 000000003540: E0511000 8005003D
	s_add_u32 m0, 0x800, s49                                   // 000000003548: 807C31FF 00000800
	buffer_load_dword v62, s[20:23], 0 offen lds               // 000000003550: E0511000 8005003E
	s_add_u32 m0, 0x900, s49                                   // 000000003558: 807C31FF 00000900
	buffer_load_dword v63, s[20:23], 0 offen lds               // 000000003560: E0511000 8005003F
	s_add_u32 m0, 0xa00, s49                                   // 000000003568: 807C31FF 00000A00
	buffer_load_dword v64, s[20:23], 0 offen lds               // 000000003570: E0511000 80050040
	s_add_u32 m0, 0xb00, s49                                   // 000000003578: 807C31FF 00000B00
	buffer_load_dword v65, s[20:23], 0 offen lds               // 000000003580: E0511000 80050041
	s_add_u32 m0, 0, s50                                       // 000000003588: 807C3280
	s_add_u32 s20, s57, s20                                    // 00000000358C: 80141439
	s_addc_u32 s21, 0, s21                                     // 000000003590: 82151580
	buffer_load_dword v42, v30, s[28:31], 0 offen              // 000000003594: E0501000 80072A1E
	buffer_load_dword v43, v31, s[28:31], 0 offen              // 00000000359C: E0501000 80072B1F
	buffer_load_dword v44, v32, s[28:31], 0 offen              // 0000000035A4: E0501000 80072C20
	buffer_load_dword v45, v33, s[28:31], 0 offen              // 0000000035AC: E0501000 80072D21
	buffer_load_dword v46, v34, s[28:31], 0 offen              // 0000000035B4: E0501000 80072E22
	buffer_load_dword v47, v35, s[28:31], 0 offen              // 0000000035BC: E0501000 80072F23
	s_add_u32 s28, s3, s28                                     // 0000000035C4: 801C1C03
	s_addc_u32 s29, 0, s29                                     // 0000000035C8: 821D1D80
	buffer_load_dwordx4 a[112:115], v66, s[84:87], 0 offen     // 0000000035CC: E05C1000 80957042
	buffer_load_dwordx4 a[116:119], v66, s[84:87], 0 offen offset:1024// 0000000035D4: E05C1400 80957442
	buffer_load_dwordx4 a[120:123], v67, s[84:87], 0 offen     // 0000000035DC: E05C1000 80957843
	buffer_load_dwordx4 a[124:127], v67, s[84:87], 0 offen offset:1024// 0000000035E4: E05C1400 80957C43
	s_add_u32 s84, s83, s84                                    // 0000000035EC: 80545453
	s_addc_u32 s85, 0, s85                                     // 0000000035F0: 82555580
	buffer_load_dword v27, v23, s[32:35], 0 offen              // 0000000035F4: E0501000 80081B17
	s_add_u32 s32, s4, s32                                     // 0000000035FC: 80202004
	s_addc_u32 s33, 0, s33                                     // 000000003600: 82212180
	s_waitcnt vmcnt(34)                                        // 000000003604: BF8C8F72
	s_barrier                                                  // 000000003608: BF8A0000
	ds_read_b128 a[0:3], v2                                    // 00000000360C: DBFE0000 00000002
	ds_read_b128 a[4:7], v2 offset:64                          // 000000003614: DBFE0040 04000002
	ds_read_b128 a[8:11], v2 offset:512                        // 00000000361C: DBFE0200 08000002
	ds_read_b128 a[12:15], v2 offset:576                       // 000000003624: DBFE0240 0C000002
	ds_read_b128 a[16:19], v2 offset:1024                      // 00000000362C: DBFE0400 10000002
	ds_read_b128 a[20:23], v2 offset:1088                      // 000000003634: DBFE0440 14000002
	ds_read_b128 a[24:27], v2 offset:1536                      // 00000000363C: DBFE0600 18000002
	ds_read_b128 a[28:31], v2 offset:1600                      // 000000003644: DBFE0640 1C000002
	ds_read_b128 a[32:35], v2 offset:2048                      // 00000000364C: DBFE0800 20000002
	ds_read_b128 a[36:39], v2 offset:2112                      // 000000003654: DBFE0840 24000002
	ds_read_b128 a[40:43], v2 offset:2560                      // 00000000365C: DBFE0A00 28000002
	ds_read_b128 a[44:47], v2 offset:2624                      // 000000003664: DBFE0A40 2C000002
	s_cmp_lt_i32 s7, 2                                         // 00000000366C: BF048207
	s_cbranch_scc0 label_1DFC                                  // 000000003670: BF841ADC

0000000000003674 <label_031D>:
	s_waitcnt vmcnt(23) lgkmcnt(0)                             // 000000003674: BF8C4077
	v_mul_f32_dpp v4, v24, v36 row_newbcast:0 row_mask:0xf bank_mask:0xf// 000000003678: 0A0848FA FF015018
	v_mfma_f32_16x16x32_fp8_fp8 v[8:11], a[96:97], a[0:1], 0   // 000000003680: D3F30008 1A020160
	buffer_load_dword v25, v22, s[32:35], 0 offen              // 000000003688: E0501000 80081916
	v_mfma_f32_16x16x32_fp8_fp8 v[8:11], a[98:99], a[2:3], v[8:11]// 000000003690: D3F30008 1C220562
	buffer_load_dwordx4 a[128:131], v66, s[24:27], 0 offen     // 000000003698: E05C1000 80868042
	v_mfma_f32_16x16x32_fp8_fp8 v[8:11], a[100:101], a[4:5], v[8:11]// 0000000036A0: D3F30008 1C220964
	v_mfma_f32_16x16x32_fp8_fp8 v[8:11], a[102:103], a[6:7], v[8:11]// 0000000036A8: D3F30008 1C220D66
	v_mfma_f32_16x16x32_fp8_fp8 v[12:15], a[104:105], a[0:1], 0// 0000000036B0: D3F3000C 1A020168
	v_mfma_f32_16x16x32_fp8_fp8 v[12:15], a[106:107], a[2:3], v[12:15]// 0000000036B8: D3F3000C 1C32056A
	buffer_load_dwordx4 a[132:135], v66, s[24:27], 0 offen offset:1024// 0000000036C0: E05C1400 80868442
	v_mfma_f32_16x16x32_fp8_fp8 v[12:15], a[108:109], a[4:5], v[12:15]// 0000000036C8: D3F3000C 1C32096C
	v_mfma_f32_16x16x32_fp8_fp8 v[12:15], a[110:111], a[6:7], v[12:15]// 0000000036D0: D3F3000C 1C320D6E
	v_fma_f32 v68, v8, v4, v68                                 // 0000000036D8: D1CB0044 05120908
	v_fma_f32 v69, v9, v4, v69                                 // 0000000036E0: D1CB0045 05160909
	v_fma_f32 v70, v10, v4, v70                                // 0000000036E8: D1CB0046 051A090A
	v_fma_f32 v71, v11, v4, v71                                // 0000000036F0: D1CB0047 051E090B
	v_mul_f32_dpp v6, v24, v37 row_newbcast:0 row_mask:0xf bank_mask:0xf// 0000000036F8: 0A0C4AFA FF015018
	v_mfma_f32_16x16x32_fp8_fp8 v[8:11], a[96:97], a[8:9], 0   // 000000003700: D3F30008 1A021160
	v_mfma_f32_16x16x32_fp8_fp8 v[8:11], a[98:99], a[10:11], v[8:11]// 000000003708: D3F30008 1C221562
	buffer_load_dwordx4 a[136:139], v67, s[24:27], 0 offen     // 000000003710: E05C1000 80868843
	v_mfma_f32_16x16x32_fp8_fp8 v[8:11], a[100:101], a[12:13], v[8:11]// 000000003718: D3F30008 1C221964
	v_mfma_f32_16x16x32_fp8_fp8 v[8:11], a[102:103], a[14:15], v[8:11]// 000000003720: D3F30008 1C221D66
	v_fma_f32 v92, v12, v4, v92                                // 000000003728: D1CB005C 0572090C
	v_fma_f32 v93, v13, v4, v93                                // 000000003730: D1CB005D 0576090D
	v_fma_f32 v94, v14, v4, v94                                // 000000003738: D1CB005E 057A090E
	v_fma_f32 v95, v15, v4, v95                                // 000000003740: D1CB005F 057E090F
	v_mfma_f32_16x16x32_fp8_fp8 v[12:15], a[104:105], a[8:9], 0// 000000003748: D3F3000C 1A021168
	v_mfma_f32_16x16x32_fp8_fp8 v[12:15], a[106:107], a[10:11], v[12:15]// 000000003750: D3F3000C 1C32156A
	buffer_load_dwordx4 a[140:143], v67, s[24:27], 0 offen offset:1024// 000000003758: E05C1400 80868C43
	buffer_load_dword v54, s[20:23], 0 offen lds               // 000000003760: E0511000 80050036
	s_add_u32 m0, 0x100, s50                                   // 000000003768: 807C32FF 00000100
	v_mfma_f32_16x16x32_fp8_fp8 v[12:15], a[108:109], a[12:13], v[12:15]// 000000003770: D3F3000C 1C32196C
	v_mfma_f32_16x16x32_fp8_fp8 v[12:15], a[110:111], a[14:15], v[12:15]// 000000003778: D3F3000C 1C321D6E
	buffer_load_dword v55, s[20:23], 0 offen lds               // 000000003780: E0511000 80050037
	s_add_u32 m0, 0x200, s50                                   // 000000003788: 807C32FF 00000200
	v_fma_f32 v72, v8, v6, v72                                 // 000000003790: D1CB0048 05220D08
	v_fma_f32 v73, v9, v6, v73                                 // 000000003798: D1CB0049 05260D09
	v_fma_f32 v74, v10, v6, v74                                // 0000000037A0: D1CB004A 052A0D0A
	v_fma_f32 v75, v11, v6, v75                                // 0000000037A8: D1CB004B 052E0D0B
	v_mul_f32_dpp v4, v24, v38 row_newbcast:0 row_mask:0xf bank_mask:0xf// 0000000037B0: 0A084CFA FF015018
	v_mfma_f32_16x16x32_fp8_fp8 v[8:11], a[96:97], a[16:17], 0 // 0000000037B8: D3F30008 1A022160
	v_mfma_f32_16x16x32_fp8_fp8 v[8:11], a[98:99], a[18:19], v[8:11]// 0000000037C0: D3F30008 1C222562
	buffer_load_dword v56, s[20:23], 0 offen lds               // 0000000037C8: E0511000 80050038
	s_add_u32 m0, 0x300, s50                                   // 0000000037D0: 807C32FF 00000300
	v_mfma_f32_16x16x32_fp8_fp8 v[8:11], a[100:101], a[20:21], v[8:11]// 0000000037D8: D3F30008 1C222964
	v_mfma_f32_16x16x32_fp8_fp8 v[8:11], a[102:103], a[22:23], v[8:11]// 0000000037E0: D3F30008 1C222D66
	buffer_load_dword v57, s[20:23], 0 offen lds               // 0000000037E8: E0511000 80050039
	s_add_u32 m0, 0x400, s50                                   // 0000000037F0: 807C32FF 00000400
	v_fma_f32 v96, v12, v6, v96                                // 0000000037F8: D1CB0060 05820D0C
	v_fma_f32 v97, v13, v6, v97                                // 000000003800: D1CB0061 05860D0D
	v_fma_f32 v98, v14, v6, v98                                // 000000003808: D1CB0062 058A0D0E
	v_fma_f32 v99, v15, v6, v99                                // 000000003810: D1CB0063 058E0D0F
	v_mfma_f32_16x16x32_fp8_fp8 v[12:15], a[104:105], a[16:17], 0// 000000003818: D3F3000C 1A022168
	v_mfma_f32_16x16x32_fp8_fp8 v[12:15], a[106:107], a[18:19], v[12:15]// 000000003820: D3F3000C 1C32256A
	buffer_load_dword v58, s[20:23], 0 offen lds               // 000000003828: E0511000 8005003A
	s_add_u32 m0, 0x500, s50                                   // 000000003830: 807C32FF 00000500
	v_mfma_f32_16x16x32_fp8_fp8 v[12:15], a[108:109], a[20:21], v[12:15]// 000000003838: D3F3000C 1C32296C
	v_mfma_f32_16x16x32_fp8_fp8 v[12:15], a[110:111], a[22:23], v[12:15]// 000000003840: D3F3000C 1C322D6E
	buffer_load_dword v59, s[20:23], 0 offen lds               // 000000003848: E0511000 8005003B
	s_add_u32 m0, 0x600, s50                                   // 000000003850: 807C32FF 00000600
	v_fma_f32 v76, v8, v4, v76                                 // 000000003858: D1CB004C 05320908
	v_fma_f32 v77, v9, v4, v77                                 // 000000003860: D1CB004D 05360909
	v_fma_f32 v78, v10, v4, v78                                // 000000003868: D1CB004E 053A090A
	v_fma_f32 v79, v11, v4, v79                                // 000000003870: D1CB004F 053E090B
	v_mul_f32_dpp v6, v24, v39 row_newbcast:0 row_mask:0xf bank_mask:0xf// 000000003878: 0A0C4EFA FF015018
	v_mfma_f32_16x16x32_fp8_fp8 v[8:11], a[96:97], a[24:25], 0 // 000000003880: D3F30008 1A023160
	v_mfma_f32_16x16x32_fp8_fp8 v[8:11], a[98:99], a[26:27], v[8:11]// 000000003888: D3F30008 1C223562
	buffer_load_dword v60, s[20:23], 0 offen lds               // 000000003890: E0511000 8005003C
	s_add_u32 m0, 0x700, s50                                   // 000000003898: 807C32FF 00000700
	v_mfma_f32_16x16x32_fp8_fp8 v[8:11], a[100:101], a[28:29], v[8:11]// 0000000038A0: D3F30008 1C223964
	v_mfma_f32_16x16x32_fp8_fp8 v[8:11], a[102:103], a[30:31], v[8:11]// 0000000038A8: D3F30008 1C223D66
	buffer_load_dword v61, s[20:23], 0 offen lds               // 0000000038B0: E0511000 8005003D
	s_add_u32 m0, 0x800, s50                                   // 0000000038B8: 807C32FF 00000800
	v_fma_f32 v100, v12, v4, v100                              // 0000000038C0: D1CB0064 0592090C
	v_fma_f32 v101, v13, v4, v101                              // 0000000038C8: D1CB0065 0596090D
	v_fma_f32 v102, v14, v4, v102                              // 0000000038D0: D1CB0066 059A090E
	v_fma_f32 v103, v15, v4, v103                              // 0000000038D8: D1CB0067 059E090F
	v_mfma_f32_16x16x32_fp8_fp8 v[12:15], a[104:105], a[24:25], 0// 0000000038E0: D3F3000C 1A023168
	v_mfma_f32_16x16x32_fp8_fp8 v[12:15], a[106:107], a[26:27], v[12:15]// 0000000038E8: D3F3000C 1C32356A
	buffer_load_dword v62, s[20:23], 0 offen lds               // 0000000038F0: E0511000 8005003E
	s_add_u32 m0, 0x900, s50                                   // 0000000038F8: 807C32FF 00000900
	v_mfma_f32_16x16x32_fp8_fp8 v[12:15], a[108:109], a[28:29], v[12:15]// 000000003900: D3F3000C 1C32396C
	v_mfma_f32_16x16x32_fp8_fp8 v[12:15], a[110:111], a[30:31], v[12:15]// 000000003908: D3F3000C 1C323D6E
	buffer_load_dword v63, s[20:23], 0 offen lds               // 000000003910: E0511000 8005003F
	s_add_u32 m0, 0xa00, s50                                   // 000000003918: 807C32FF 00000A00
	v_fma_f32 v80, v8, v6, v80                                 // 000000003920: D1CB0050 05420D08
	v_fma_f32 v81, v9, v6, v81                                 // 000000003928: D1CB0051 05460D09
	v_fma_f32 v82, v10, v6, v82                                // 000000003930: D1CB0052 054A0D0A
	v_fma_f32 v83, v11, v6, v83                                // 000000003938: D1CB0053 054E0D0B
	v_mul_f32_dpp v4, v24, v40 row_newbcast:0 row_mask:0xf bank_mask:0xf// 000000003940: 0A0850FA FF015018
	v_mfma_f32_16x16x32_fp8_fp8 v[8:11], a[96:97], a[32:33], 0 // 000000003948: D3F30008 1A024160
	v_mfma_f32_16x16x32_fp8_fp8 v[8:11], a[98:99], a[34:35], v[8:11]// 000000003950: D3F30008 1C224562
	buffer_load_dword v64, s[20:23], 0 offen lds               // 000000003958: E0511000 80050040
	s_add_u32 m0, 0xb00, s50                                   // 000000003960: 807C32FF 00000B00
	v_mfma_f32_16x16x32_fp8_fp8 v[8:11], a[100:101], a[36:37], v[8:11]// 000000003968: D3F30008 1C224964
	v_mfma_f32_16x16x32_fp8_fp8 v[8:11], a[102:103], a[38:39], v[8:11]// 000000003970: D3F30008 1C224D66
	buffer_load_dword v65, s[20:23], 0 offen lds               // 000000003978: E0511000 80050041
	s_add_u32 m0, 0, s48                                       // 000000003980: 807C3080
	v_fma_f32 v104, v12, v6, v104                              // 000000003984: D1CB0068 05A20D0C
	v_fma_f32 v105, v13, v6, v105                              // 00000000398C: D1CB0069 05A60D0D
	v_fma_f32 v106, v14, v6, v106                              // 000000003994: D1CB006A 05AA0D0E
	v_fma_f32 v107, v15, v6, v107                              // 00000000399C: D1CB006B 05AE0D0F
	v_mfma_f32_16x16x32_fp8_fp8 v[12:15], a[104:105], a[32:33], 0// 0000000039A4: D3F3000C 1A024168
	v_mfma_f32_16x16x32_fp8_fp8 v[12:15], a[106:107], a[34:35], v[12:15]// 0000000039AC: D3F3000C 1C32456A
	buffer_load_dword v48, v30, s[28:31], 0 offen              // 0000000039B4: E0501000 8007301E
	v_mfma_f32_16x16x32_fp8_fp8 v[12:15], a[108:109], a[36:37], v[12:15]// 0000000039BC: D3F3000C 1C32496C
	v_mfma_f32_16x16x32_fp8_fp8 v[12:15], a[110:111], a[38:39], v[12:15]// 0000000039C4: D3F3000C 1C324D6E
	buffer_load_dword v49, v31, s[28:31], 0 offen              // 0000000039CC: E0501000 8007311F
	v_fma_f32 v84, v8, v4, v84                                 // 0000000039D4: D1CB0054 05520908
	v_fma_f32 v85, v9, v4, v85                                 // 0000000039DC: D1CB0055 05560909
	v_fma_f32 v86, v10, v4, v86                                // 0000000039E4: D1CB0056 055A090A
	v_fma_f32 v87, v11, v4, v87                                // 0000000039EC: D1CB0057 055E090B
	v_mul_f32_dpp v6, v24, v41 row_newbcast:0 row_mask:0xf bank_mask:0xf// 0000000039F4: 0A0C52FA FF015018
	v_mfma_f32_16x16x32_fp8_fp8 v[8:11], a[96:97], a[40:41], 0 // 0000000039FC: D3F30008 1A025160
	v_mfma_f32_16x16x32_fp8_fp8 v[8:11], a[98:99], a[42:43], v[8:11]// 000000003A04: D3F30008 1C225562
	buffer_load_dword v50, v32, s[28:31], 0 offen              // 000000003A0C: E0501000 80073220
	v_mfma_f32_16x16x32_fp8_fp8 v[8:11], a[100:101], a[44:45], v[8:11]// 000000003A14: D3F30008 1C225964
	v_mfma_f32_16x16x32_fp8_fp8 v[8:11], a[102:103], a[46:47], v[8:11]// 000000003A1C: D3F30008 1C225D66
	buffer_load_dword v51, v33, s[28:31], 0 offen              // 000000003A24: E0501000 80073321
	v_fma_f32 v108, v12, v4, v108                              // 000000003A2C: D1CB006C 05B2090C
	v_fma_f32 v109, v13, v4, v109                              // 000000003A34: D1CB006D 05B6090D
	v_fma_f32 v110, v14, v4, v110                              // 000000003A3C: D1CB006E 05BA090E
	v_fma_f32 v111, v15, v4, v111                              // 000000003A44: D1CB006F 05BE090F
	v_mfma_f32_16x16x32_fp8_fp8 v[12:15], a[104:105], a[40:41], 0// 000000003A4C: D3F3000C 1A025168
	v_mfma_f32_16x16x32_fp8_fp8 v[12:15], a[106:107], a[42:43], v[12:15]// 000000003A54: D3F3000C 1C32556A
	buffer_load_dword v52, v34, s[28:31], 0 offen              // 000000003A5C: E0501000 80073422
	v_mfma_f32_16x16x32_fp8_fp8 v[12:15], a[108:109], a[44:45], v[12:15]// 000000003A64: D3F3000C 1C32596C
	v_mfma_f32_16x16x32_fp8_fp8 v[12:15], a[110:111], a[46:47], v[12:15]// 000000003A6C: D3F3000C 1C325D6E
	buffer_load_dword v53, v35, s[28:31], 0 offen              // 000000003A74: E0501000 80073523
	v_fma_f32 v88, v8, v6, v88                                 // 000000003A7C: D1CB0058 05620D08
	v_fma_f32 v89, v9, v6, v89                                 // 000000003A84: D1CB0059 05660D09
	v_fma_f32 v90, v10, v6, v90                                // 000000003A8C: D1CB005A 056A0D0A
	v_fma_f32 v91, v11, v6, v91                                // 000000003A94: D1CB005B 056E0D0B
	v_fma_f32 v112, v12, v6, v112                              // 000000003A9C: D1CB0070 05C20D0C
	v_fma_f32 v113, v13, v6, v113                              // 000000003AA4: D1CB0071 05C60D0D
	v_fma_f32 v114, v14, v6, v114                              // 000000003AAC: D1CB0072 05CA0D0E
	v_fma_f32 v115, v15, v6, v115                              // 000000003AB4: D1CB0073 05CE0D0F
	s_waitcnt vmcnt(23)                                        // 000000003ABC: BF8C4F77
	s_barrier                                                  // 000000003AC0: BF8A0000
	v_mul_f32_dpp v4, v27, v36 row_newbcast:0 row_mask:0xf bank_mask:0xf// 000000003AC4: 0A0848FA FF01501B
	v_mfma_f32_16x16x32_fp8_fp8 v[8:11], a[112:113], a[0:1], 0 // 000000003ACC: D3F30008 1A020170
	buffer_load_dword v28, v23, s[32:35], 0 offen              // 000000003AD4: E0501000 80081C17
	v_mfma_f32_16x16x32_fp8_fp8 v[8:11], a[114:115], a[2:3], v[8:11]// 000000003ADC: D3F30008 1C220572
	buffer_load_dwordx4 a[96:99], v66, s[84:87], 0 offen       // 000000003AE4: E05C1000 80956042
	v_mfma_f32_16x16x32_fp8_fp8 v[8:11], a[116:117], a[4:5], v[8:11]// 000000003AEC: D3F30008 1C220974
	v_mfma_f32_16x16x32_fp8_fp8 v[8:11], a[118:119], a[6:7], v[8:11]// 000000003AF4: D3F30008 1C220D76
	ds_read_b128 a[48:51], v2 offset:12416                     // 000000003AFC: DBFE3080 30000002
	ds_read_b128 a[52:55], v2 offset:12480                     // 000000003B04: DBFE30C0 34000002
	v_mfma_f32_16x16x32_fp8_fp8 v[12:15], a[120:121], a[0:1], 0// 000000003B0C: D3F3000C 1A020178
	v_mfma_f32_16x16x32_fp8_fp8 v[12:15], a[122:123], a[2:3], v[12:15]// 000000003B14: D3F3000C 1C32057A
	buffer_load_dwordx4 a[100:103], v66, s[84:87], 0 offen offset:1024// 000000003B1C: E05C1400 80956442
	v_mfma_f32_16x16x32_fp8_fp8 v[12:15], a[124:125], a[4:5], v[12:15]// 000000003B24: D3F3000C 1C32097C
	v_mfma_f32_16x16x32_fp8_fp8 v[12:15], a[126:127], a[6:7], v[12:15]// 000000003B2C: D3F3000C 1C320D7E
	ds_read_b128 a[56:59], v2 offset:12928                     // 000000003B34: DBFE3280 38000002
	ds_read_b128 a[60:63], v2 offset:12992                     // 000000003B3C: DBFE32C0 3C000002
	v_fma_f32 v116, v8, v4, v116                               // 000000003B44: D1CB0074 05D20908
	v_fma_f32 v117, v9, v4, v117                               // 000000003B4C: D1CB0075 05D60909
	v_fma_f32 v118, v10, v4, v118                              // 000000003B54: D1CB0076 05DA090A
	v_fma_f32 v119, v11, v4, v119                              // 000000003B5C: D1CB0077 05DE090B
	v_mul_f32_dpp v6, v27, v37 row_newbcast:0 row_mask:0xf bank_mask:0xf// 000000003B64: 0A0C4AFA FF01501B
	v_mfma_f32_16x16x32_fp8_fp8 v[8:11], a[112:113], a[8:9], 0 // 000000003B6C: D3F30008 1A021170
	v_mfma_f32_16x16x32_fp8_fp8 v[8:11], a[114:115], a[10:11], v[8:11]// 000000003B74: D3F30008 1C221572
	buffer_load_dwordx4 a[104:107], v67, s[84:87], 0 offen     // 000000003B7C: E05C1000 80956843
	v_mfma_f32_16x16x32_fp8_fp8 v[8:11], a[116:117], a[12:13], v[8:11]// 000000003B84: D3F30008 1C221974
	v_mfma_f32_16x16x32_fp8_fp8 v[8:11], a[118:119], a[14:15], v[8:11]// 000000003B8C: D3F30008 1C221D76
	ds_read_b128 a[64:67], v2 offset:13440                     // 000000003B94: DBFE3480 40000002
	ds_read_b128 a[68:71], v2 offset:13504                     // 000000003B9C: DBFE34C0 44000002
	v_fma_f32 v140, v12, v4, v140                              // 000000003BA4: D1CB008C 0632090C
	v_fma_f32 v141, v13, v4, v141                              // 000000003BAC: D1CB008D 0636090D
	v_fma_f32 v142, v14, v4, v142                              // 000000003BB4: D1CB008E 063A090E
	v_fma_f32 v143, v15, v4, v143                              // 000000003BBC: D1CB008F 063E090F
	v_mfma_f32_16x16x32_fp8_fp8 v[12:15], a[120:121], a[8:9], 0// 000000003BC4: D3F3000C 1A021178
	v_mfma_f32_16x16x32_fp8_fp8 v[12:15], a[122:123], a[10:11], v[12:15]// 000000003BCC: D3F3000C 1C32157A
	buffer_load_dwordx4 a[108:111], v67, s[84:87], 0 offen offset:1024// 000000003BD4: E05C1400 80956C43
	v_mfma_f32_16x16x32_fp8_fp8 v[12:15], a[124:125], a[12:13], v[12:15]// 000000003BDC: D3F3000C 1C32197C
	v_mfma_f32_16x16x32_fp8_fp8 v[12:15], a[126:127], a[14:15], v[12:15]// 000000003BE4: D3F3000C 1C321D7E
	ds_read_b128 a[72:75], v2 offset:13952                     // 000000003BEC: DBFE3680 48000002
	ds_read_b128 a[76:79], v2 offset:14016                     // 000000003BF4: DBFE36C0 4C000002
	v_fma_f32 v120, v8, v6, v120                               // 000000003BFC: D1CB0078 05E20D08
	v_fma_f32 v121, v9, v6, v121                               // 000000003C04: D1CB0079 05E60D09
	v_fma_f32 v122, v10, v6, v122                              // 000000003C0C: D1CB007A 05EA0D0A
	v_fma_f32 v123, v11, v6, v123                              // 000000003C14: D1CB007B 05EE0D0B
	v_mul_f32_dpp v4, v27, v38 row_newbcast:0 row_mask:0xf bank_mask:0xf// 000000003C1C: 0A084CFA FF01501B
	v_mfma_f32_16x16x32_fp8_fp8 v[8:11], a[112:113], a[16:17], 0// 000000003C24: D3F30008 1A022170
	v_mfma_f32_16x16x32_fp8_fp8 v[8:11], a[114:115], a[18:19], v[8:11]// 000000003C2C: D3F30008 1C222572
	v_mfma_f32_16x16x32_fp8_fp8 v[8:11], a[116:117], a[20:21], v[8:11]// 000000003C34: D3F30008 1C222974
	v_mfma_f32_16x16x32_fp8_fp8 v[8:11], a[118:119], a[22:23], v[8:11]// 000000003C3C: D3F30008 1C222D76
	ds_read_b128 a[80:83], v2 offset:14464                     // 000000003C44: DBFE3880 50000002
	ds_read_b128 a[84:87], v2 offset:14528                     // 000000003C4C: DBFE38C0 54000002
	v_fma_f32 v144, v12, v6, v144                              // 000000003C54: D1CB0090 06420D0C
	v_fma_f32 v145, v13, v6, v145                              // 000000003C5C: D1CB0091 06460D0D
	v_fma_f32 v146, v14, v6, v146                              // 000000003C64: D1CB0092 064A0D0E
	v_fma_f32 v147, v15, v6, v147                              // 000000003C6C: D1CB0093 064E0D0F
	v_mfma_f32_16x16x32_fp8_fp8 v[12:15], a[120:121], a[16:17], 0// 000000003C74: D3F3000C 1A022178
	v_mfma_f32_16x16x32_fp8_fp8 v[12:15], a[122:123], a[18:19], v[12:15]// 000000003C7C: D3F3000C 1C32257A
	v_mfma_f32_16x16x32_fp8_fp8 v[12:15], a[124:125], a[20:21], v[12:15]// 000000003C84: D3F3000C 1C32297C
	v_mfma_f32_16x16x32_fp8_fp8 v[12:15], a[126:127], a[22:23], v[12:15]// 000000003C8C: D3F3000C 1C322D7E
	ds_read_b128 a[88:91], v2 offset:14976                     // 000000003C94: DBFE3A80 58000002
	ds_read_b128 a[92:95], v2 offset:15040                     // 000000003C9C: DBFE3AC0 5C000002
	v_fma_f32 v124, v8, v4, v124                               // 000000003CA4: D1CB007C 05F20908
	v_fma_f32 v125, v9, v4, v125                               // 000000003CAC: D1CB007D 05F60909
	v_fma_f32 v126, v10, v4, v126                              // 000000003CB4: D1CB007E 05FA090A
	v_fma_f32 v127, v11, v4, v127                              // 000000003CBC: D1CB007F 05FE090B
	v_mul_f32_dpp v6, v27, v39 row_newbcast:0 row_mask:0xf bank_mask:0xf// 000000003CC4: 0A0C4EFA FF01501B
	v_mfma_f32_16x16x32_fp8_fp8 v[8:11], a[112:113], a[24:25], 0// 000000003CCC: D3F30008 1A023170
	v_mfma_f32_16x16x32_fp8_fp8 v[8:11], a[114:115], a[26:27], v[8:11]// 000000003CD4: D3F30008 1C223572
	v_mfma_f32_16x16x32_fp8_fp8 v[8:11], a[116:117], a[28:29], v[8:11]// 000000003CDC: D3F30008 1C223974
	v_mfma_f32_16x16x32_fp8_fp8 v[8:11], a[118:119], a[30:31], v[8:11]// 000000003CE4: D3F30008 1C223D76
	v_fma_f32 v148, v12, v4, v148                              // 000000003CEC: D1CB0094 0652090C
	v_fma_f32 v149, v13, v4, v149                              // 000000003CF4: D1CB0095 0656090D
	v_fma_f32 v150, v14, v4, v150                              // 000000003CFC: D1CB0096 065A090E
	v_fma_f32 v151, v15, v4, v151                              // 000000003D04: D1CB0097 065E090F
	v_mfma_f32_16x16x32_fp8_fp8 v[12:15], a[120:121], a[24:25], 0// 000000003D0C: D3F3000C 1A023178
	v_mfma_f32_16x16x32_fp8_fp8 v[12:15], a[122:123], a[26:27], v[12:15]// 000000003D14: D3F3000C 1C32357A
	v_mfma_f32_16x16x32_fp8_fp8 v[12:15], a[124:125], a[28:29], v[12:15]// 000000003D1C: D3F3000C 1C32397C
	v_mfma_f32_16x16x32_fp8_fp8 v[12:15], a[126:127], a[30:31], v[12:15]// 000000003D24: D3F3000C 1C323D7E
	v_fma_f32 v128, v8, v6, v128                               // 000000003D2C: D1CB0080 06020D08
	v_fma_f32 v129, v9, v6, v129                               // 000000003D34: D1CB0081 06060D09
	v_fma_f32 v130, v10, v6, v130                              // 000000003D3C: D1CB0082 060A0D0A
	v_fma_f32 v131, v11, v6, v131                              // 000000003D44: D1CB0083 060E0D0B
	v_mul_f32_dpp v4, v27, v40 row_newbcast:0 row_mask:0xf bank_mask:0xf// 000000003D4C: 0A0850FA FF01501B
	v_mfma_f32_16x16x32_fp8_fp8 v[8:11], a[112:113], a[32:33], 0// 000000003D54: D3F30008 1A024170
	v_mfma_f32_16x16x32_fp8_fp8 v[8:11], a[114:115], a[34:35], v[8:11]// 000000003D5C: D3F30008 1C224572
	v_mfma_f32_16x16x32_fp8_fp8 v[8:11], a[116:117], a[36:37], v[8:11]// 000000003D64: D3F30008 1C224974
	v_mfma_f32_16x16x32_fp8_fp8 v[8:11], a[118:119], a[38:39], v[8:11]// 000000003D6C: D3F30008 1C224D76
	v_fma_f32 v152, v12, v6, v152                              // 000000003D74: D1CB0098 06620D0C
	v_fma_f32 v153, v13, v6, v153                              // 000000003D7C: D1CB0099 06660D0D
	v_fma_f32 v154, v14, v6, v154                              // 000000003D84: D1CB009A 066A0D0E
	v_fma_f32 v155, v15, v6, v155                              // 000000003D8C: D1CB009B 066E0D0F
	v_mfma_f32_16x16x32_fp8_fp8 v[12:15], a[120:121], a[32:33], 0// 000000003D94: D3F3000C 1A024178
	v_mfma_f32_16x16x32_fp8_fp8 v[12:15], a[122:123], a[34:35], v[12:15]// 000000003D9C: D3F3000C 1C32457A
	v_mfma_f32_16x16x32_fp8_fp8 v[12:15], a[124:125], a[36:37], v[12:15]// 000000003DA4: D3F3000C 1C32497C
	v_mfma_f32_16x16x32_fp8_fp8 v[12:15], a[126:127], a[38:39], v[12:15]// 000000003DAC: D3F3000C 1C324D7E
	v_fma_f32 v132, v8, v4, v132                               // 000000003DB4: D1CB0084 06120908
	v_fma_f32 v133, v9, v4, v133                               // 000000003DBC: D1CB0085 06160909
	v_fma_f32 v134, v10, v4, v134                              // 000000003DC4: D1CB0086 061A090A
	v_fma_f32 v135, v11, v4, v135                              // 000000003DCC: D1CB0087 061E090B
	v_mul_f32_dpp v6, v27, v41 row_newbcast:0 row_mask:0xf bank_mask:0xf// 000000003DD4: 0A0C52FA FF01501B
	v_mfma_f32_16x16x32_fp8_fp8 v[8:11], a[112:113], a[40:41], 0// 000000003DDC: D3F30008 1A025170
	s_add_u32 s60, 0x180, s80                                  // 000000003DE4: 803C50FF 00000180
	s_cmp_lt_u32 s60, s81                                      // 000000003DEC: BF0A513C
	s_cselect_b32 s57, s57, 0                                  // 000000003DF0: 85398039
	s_cselect_b32 s3, s3, 0                                    // 000000003DF4: 85038003
	v_mfma_f32_16x16x32_fp8_fp8 v[8:11], a[114:115], a[42:43], v[8:11]// 000000003DF8: D3F30008 1C225572
	s_add_u32 s60, 0x100, s80                                  // 000000003E00: 803C50FF 00000100
	s_cmp_lt_u32 s60, s81                                      // 000000003E08: BF0A513C
	s_cselect_b32 s58, s58, 0                                  // 000000003E0C: 853A803A
	v_mfma_f32_16x16x32_fp8_fp8 v[8:11], a[116:117], a[44:45], v[8:11]// 000000003E10: D3F30008 1C225974
	s_add_u32 s60, 0x100, s80                                  // 000000003E18: 803C50FF 00000100
	s_cmp_lt_u32 s60, s81                                      // 000000003E20: BF0A513C
	s_cselect_b32 s83, s83, 0                                  // 000000003E24: 85538053
	s_cselect_b32 s4, s4, 0                                    // 000000003E28: 85048004
	v_mfma_f32_16x16x32_fp8_fp8 v[8:11], a[118:119], a[46:47], v[8:11]// 000000003E2C: D3F30008 1C225D76
	s_add_u32 s24, s58, s24                                    // 000000003E34: 8018183A
	s_addc_u32 s25, 0, s25                                     // 000000003E38: 82191980
	v_fma_f32 v156, v12, v4, v156                              // 000000003E3C: D1CB009C 0672090C
	v_fma_f32 v157, v13, v4, v157                              // 000000003E44: D1CB009D 0676090D
	v_fma_f32 v158, v14, v4, v158                              // 000000003E4C: D1CB009E 067A090E
	v_fma_f32 v159, v15, v4, v159                              // 000000003E54: D1CB009F 067E090F
	v_mfma_f32_16x16x32_fp8_fp8 v[12:15], a[120:121], a[40:41], 0// 000000003E5C: D3F3000C 1A025178
	s_add_u32 s20, s57, s20                                    // 000000003E64: 80141439
	s_addc_u32 s21, 0, s21                                     // 000000003E68: 82151580
	s_add_u32 s28, s3, s28                                     // 000000003E6C: 801C1C03
	s_addc_u32 s29, 0, s29                                     // 000000003E70: 821D1D80
	v_mfma_f32_16x16x32_fp8_fp8 v[12:15], a[122:123], a[42:43], v[12:15]// 000000003E74: D3F3000C 1C32557A
	s_add_u32 s84, s83, s84                                    // 000000003E7C: 80545453
	s_addc_u32 s85, 0, s85                                     // 000000003E80: 82555580
	v_mfma_f32_16x16x32_fp8_fp8 v[12:15], a[124:125], a[44:45], v[12:15]// 000000003E84: D3F3000C 1C32597C
	s_add_u32 s32, s4, s32                                     // 000000003E8C: 80202004
	s_addc_u32 s33, 0, s33                                     // 000000003E90: 82212180
	v_mfma_f32_16x16x32_fp8_fp8 v[12:15], a[126:127], a[46:47], v[12:15]// 000000003E94: D3F3000C 1C325D7E
	v_fma_f32 v136, v8, v6, v136                               // 000000003E9C: D1CB0088 06220D08
	v_fma_f32 v137, v9, v6, v137                               // 000000003EA4: D1CB0089 06260D09
	v_fma_f32 v138, v10, v6, v138                              // 000000003EAC: D1CB008A 062A0D0A
	v_fma_f32 v139, v11, v6, v139                              // 000000003EB4: D1CB008B 062E0D0B
	v_fma_f32 v160, v12, v6, v160                              // 000000003EBC: D1CB00A0 06820D0C
	v_fma_f32 v161, v13, v6, v161                              // 000000003EC4: D1CB00A1 06860D0D
	v_fma_f32 v162, v14, v6, v162                              // 000000003ECC: D1CB00A2 068A0D0E
	v_fma_f32 v163, v15, v6, v163                              // 000000003ED4: D1CB00A3 068E0D0F
	s_addk_i32 s80, 0x80                                       // 000000003EDC: B7500080
	s_cmp_lt_i32 s80, s81                                      // 000000003EE0: BF045150
	s_cbranch_scc0 label_0FCC                                  // 000000003EE4: BF840A92
	s_waitcnt vmcnt(23) lgkmcnt(0)                             // 000000003EE8: BF8C4077
	v_mul_f32_dpp v4, v25, v42 row_newbcast:0 row_mask:0xf bank_mask:0xf// 000000003EEC: 0A0854FA FF015019
	v_mfma_f32_16x16x32_fp8_fp8 v[8:11], a[128:129], a[48:49], 0// 000000003EF4: D3F30008 1A026180
	buffer_load_dword v26, v22, s[32:35], 0 offen              // 000000003EFC: E0501000 80081A16
	v_mfma_f32_16x16x32_fp8_fp8 v[8:11], a[130:131], a[50:51], v[8:11]// 000000003F04: D3F30008 1C226582
	buffer_load_dwordx4 a[112:115], v66, s[24:27], 0 offen     // 000000003F0C: E05C1000 80867042
	v_mfma_f32_16x16x32_fp8_fp8 v[8:11], a[132:133], a[52:53], v[8:11]// 000000003F14: D3F30008 1C226984
	v_mfma_f32_16x16x32_fp8_fp8 v[8:11], a[134:135], a[54:55], v[8:11]// 000000003F1C: D3F30008 1C226D86
	v_mfma_f32_16x16x32_fp8_fp8 v[12:15], a[136:137], a[48:49], 0// 000000003F24: D3F3000C 1A026188
	v_mfma_f32_16x16x32_fp8_fp8 v[12:15], a[138:139], a[50:51], v[12:15]// 000000003F2C: D3F3000C 1C32658A
	buffer_load_dwordx4 a[116:119], v66, s[24:27], 0 offen offset:1024// 000000003F34: E05C1400 80867442
	v_mfma_f32_16x16x32_fp8_fp8 v[12:15], a[140:141], a[52:53], v[12:15]// 000000003F3C: D3F3000C 1C32698C
	v_mfma_f32_16x16x32_fp8_fp8 v[12:15], a[142:143], a[54:55], v[12:15]// 000000003F44: D3F3000C 1C326D8E
	v_fma_f32 v68, v8, v4, v68                                 // 000000003F4C: D1CB0044 05120908
	v_fma_f32 v69, v9, v4, v69                                 // 000000003F54: D1CB0045 05160909
	v_fma_f32 v70, v10, v4, v70                                // 000000003F5C: D1CB0046 051A090A
	v_fma_f32 v71, v11, v4, v71                                // 000000003F64: D1CB0047 051E090B
	v_mul_f32_dpp v6, v25, v43 row_newbcast:0 row_mask:0xf bank_mask:0xf// 000000003F6C: 0A0C56FA FF015019
	v_mfma_f32_16x16x32_fp8_fp8 v[8:11], a[128:129], a[56:57], 0// 000000003F74: D3F30008 1A027180
	v_mfma_f32_16x16x32_fp8_fp8 v[8:11], a[130:131], a[58:59], v[8:11]// 000000003F7C: D3F30008 1C227582
	buffer_load_dwordx4 a[120:123], v67, s[24:27], 0 offen     // 000000003F84: E05C1000 80867843
	v_mfma_f32_16x16x32_fp8_fp8 v[8:11], a[132:133], a[60:61], v[8:11]// 000000003F8C: D3F30008 1C227984
	v_mfma_f32_16x16x32_fp8_fp8 v[8:11], a[134:135], a[62:63], v[8:11]// 000000003F94: D3F30008 1C227D86
	v_fma_f32 v92, v12, v4, v92                                // 000000003F9C: D1CB005C 0572090C
	v_fma_f32 v93, v13, v4, v93                                // 000000003FA4: D1CB005D 0576090D
	v_fma_f32 v94, v14, v4, v94                                // 000000003FAC: D1CB005E 057A090E
	v_fma_f32 v95, v15, v4, v95                                // 000000003FB4: D1CB005F 057E090F
	v_mfma_f32_16x16x32_fp8_fp8 v[12:15], a[136:137], a[56:57], 0// 000000003FBC: D3F3000C 1A027188
	v_mfma_f32_16x16x32_fp8_fp8 v[12:15], a[138:139], a[58:59], v[12:15]// 000000003FC4: D3F3000C 1C32758A
	buffer_load_dwordx4 a[124:127], v67, s[24:27], 0 offen offset:1024// 000000003FCC: E05C1400 80867C43
	buffer_load_dword v54, s[20:23], 0 offen lds               // 000000003FD4: E0511000 80050036
	s_add_u32 m0, 0x100, s48                                   // 000000003FDC: 807C30FF 00000100
	v_mfma_f32_16x16x32_fp8_fp8 v[12:15], a[140:141], a[60:61], v[12:15]// 000000003FE4: D3F3000C 1C32798C
	v_mfma_f32_16x16x32_fp8_fp8 v[12:15], a[142:143], a[62:63], v[12:15]// 000000003FEC: D3F3000C 1C327D8E
	buffer_load_dword v55, s[20:23], 0 offen lds               // 000000003FF4: E0511000 80050037
	s_add_u32 m0, 0x200, s48                                   // 000000003FFC: 807C30FF 00000200
	v_fma_f32 v72, v8, v6, v72                                 // 000000004004: D1CB0048 05220D08
	v_fma_f32 v73, v9, v6, v73                                 // 00000000400C: D1CB0049 05260D09
	v_fma_f32 v74, v10, v6, v74                                // 000000004014: D1CB004A 052A0D0A
	v_fma_f32 v75, v11, v6, v75                                // 00000000401C: D1CB004B 052E0D0B
	v_mul_f32_dpp v4, v25, v44 row_newbcast:0 row_mask:0xf bank_mask:0xf// 000000004024: 0A0858FA FF015019
	v_mfma_f32_16x16x32_fp8_fp8 v[8:11], a[128:129], a[64:65], 0// 00000000402C: D3F30008 1A028180
	v_mfma_f32_16x16x32_fp8_fp8 v[8:11], a[130:131], a[66:67], v[8:11]// 000000004034: D3F30008 1C228582
	buffer_load_dword v56, s[20:23], 0 offen lds               // 00000000403C: E0511000 80050038
	s_add_u32 m0, 0x300, s48                                   // 000000004044: 807C30FF 00000300
	v_mfma_f32_16x16x32_fp8_fp8 v[8:11], a[132:133], a[68:69], v[8:11]// 00000000404C: D3F30008 1C228984
	v_mfma_f32_16x16x32_fp8_fp8 v[8:11], a[134:135], a[70:71], v[8:11]// 000000004054: D3F30008 1C228D86
	buffer_load_dword v57, s[20:23], 0 offen lds               // 00000000405C: E0511000 80050039
	s_add_u32 m0, 0x400, s48                                   // 000000004064: 807C30FF 00000400
	v_fma_f32 v96, v12, v6, v96                                // 00000000406C: D1CB0060 05820D0C
	v_fma_f32 v97, v13, v6, v97                                // 000000004074: D1CB0061 05860D0D
	v_fma_f32 v98, v14, v6, v98                                // 00000000407C: D1CB0062 058A0D0E
	v_fma_f32 v99, v15, v6, v99                                // 000000004084: D1CB0063 058E0D0F
	v_mfma_f32_16x16x32_fp8_fp8 v[12:15], a[136:137], a[64:65], 0// 00000000408C: D3F3000C 1A028188
	v_mfma_f32_16x16x32_fp8_fp8 v[12:15], a[138:139], a[66:67], v[12:15]// 000000004094: D3F3000C 1C32858A
	buffer_load_dword v58, s[20:23], 0 offen lds               // 00000000409C: E0511000 8005003A
	s_add_u32 m0, 0x500, s48                                   // 0000000040A4: 807C30FF 00000500
	v_mfma_f32_16x16x32_fp8_fp8 v[12:15], a[140:141], a[68:69], v[12:15]// 0000000040AC: D3F3000C 1C32898C
	v_mfma_f32_16x16x32_fp8_fp8 v[12:15], a[142:143], a[70:71], v[12:15]// 0000000040B4: D3F3000C 1C328D8E
	buffer_load_dword v59, s[20:23], 0 offen lds               // 0000000040BC: E0511000 8005003B
	s_add_u32 m0, 0x600, s48                                   // 0000000040C4: 807C30FF 00000600
	v_fma_f32 v76, v8, v4, v76                                 // 0000000040CC: D1CB004C 05320908
	v_fma_f32 v77, v9, v4, v77                                 // 0000000040D4: D1CB004D 05360909
	v_fma_f32 v78, v10, v4, v78                                // 0000000040DC: D1CB004E 053A090A
	v_fma_f32 v79, v11, v4, v79                                // 0000000040E4: D1CB004F 053E090B
	v_mul_f32_dpp v6, v25, v45 row_newbcast:0 row_mask:0xf bank_mask:0xf// 0000000040EC: 0A0C5AFA FF015019
	v_mfma_f32_16x16x32_fp8_fp8 v[8:11], a[128:129], a[72:73], 0// 0000000040F4: D3F30008 1A029180
	v_mfma_f32_16x16x32_fp8_fp8 v[8:11], a[130:131], a[74:75], v[8:11]// 0000000040FC: D3F30008 1C229582
	buffer_load_dword v60, s[20:23], 0 offen lds               // 000000004104: E0511000 8005003C
	s_add_u32 m0, 0x700, s48                                   // 00000000410C: 807C30FF 00000700
	v_mfma_f32_16x16x32_fp8_fp8 v[8:11], a[132:133], a[76:77], v[8:11]// 000000004114: D3F30008 1C229984
	v_mfma_f32_16x16x32_fp8_fp8 v[8:11], a[134:135], a[78:79], v[8:11]// 00000000411C: D3F30008 1C229D86
	buffer_load_dword v61, s[20:23], 0 offen lds               // 000000004124: E0511000 8005003D
	s_add_u32 m0, 0x800, s48                                   // 00000000412C: 807C30FF 00000800
	v_fma_f32 v100, v12, v4, v100                              // 000000004134: D1CB0064 0592090C
	v_fma_f32 v101, v13, v4, v101                              // 00000000413C: D1CB0065 0596090D
	v_fma_f32 v102, v14, v4, v102                              // 000000004144: D1CB0066 059A090E
	v_fma_f32 v103, v15, v4, v103                              // 00000000414C: D1CB0067 059E090F
	v_mfma_f32_16x16x32_fp8_fp8 v[12:15], a[136:137], a[72:73], 0// 000000004154: D3F3000C 1A029188
	v_mfma_f32_16x16x32_fp8_fp8 v[12:15], a[138:139], a[74:75], v[12:15]// 00000000415C: D3F3000C 1C32958A
	buffer_load_dword v62, s[20:23], 0 offen lds               // 000000004164: E0511000 8005003E
	s_add_u32 m0, 0x900, s48                                   // 00000000416C: 807C30FF 00000900
	v_mfma_f32_16x16x32_fp8_fp8 v[12:15], a[140:141], a[76:77], v[12:15]// 000000004174: D3F3000C 1C32998C
	v_mfma_f32_16x16x32_fp8_fp8 v[12:15], a[142:143], a[78:79], v[12:15]// 00000000417C: D3F3000C 1C329D8E
	buffer_load_dword v63, s[20:23], 0 offen lds               // 000000004184: E0511000 8005003F
	s_add_u32 m0, 0xa00, s48                                   // 00000000418C: 807C30FF 00000A00
	v_fma_f32 v80, v8, v6, v80                                 // 000000004194: D1CB0050 05420D08
	v_fma_f32 v81, v9, v6, v81                                 // 00000000419C: D1CB0051 05460D09
	v_fma_f32 v82, v10, v6, v82                                // 0000000041A4: D1CB0052 054A0D0A
	v_fma_f32 v83, v11, v6, v83                                // 0000000041AC: D1CB0053 054E0D0B
	v_mul_f32_dpp v4, v25, v46 row_newbcast:0 row_mask:0xf bank_mask:0xf// 0000000041B4: 0A085CFA FF015019
	v_mfma_f32_16x16x32_fp8_fp8 v[8:11], a[128:129], a[80:81], 0// 0000000041BC: D3F30008 1A02A180
	v_mfma_f32_16x16x32_fp8_fp8 v[8:11], a[130:131], a[82:83], v[8:11]// 0000000041C4: D3F30008 1C22A582
	buffer_load_dword v64, s[20:23], 0 offen lds               // 0000000041CC: E0511000 80050040
	s_add_u32 m0, 0xb00, s48                                   // 0000000041D4: 807C30FF 00000B00
	v_mfma_f32_16x16x32_fp8_fp8 v[8:11], a[132:133], a[84:85], v[8:11]// 0000000041DC: D3F30008 1C22A984
	v_mfma_f32_16x16x32_fp8_fp8 v[8:11], a[134:135], a[86:87], v[8:11]// 0000000041E4: D3F30008 1C22AD86
	buffer_load_dword v65, s[20:23], 0 offen lds               // 0000000041EC: E0511000 80050041
	s_add_u32 m0, 0, s49                                       // 0000000041F4: 807C3180
	v_fma_f32 v104, v12, v6, v104                              // 0000000041F8: D1CB0068 05A20D0C
	v_fma_f32 v105, v13, v6, v105                              // 000000004200: D1CB0069 05A60D0D
	v_fma_f32 v106, v14, v6, v106                              // 000000004208: D1CB006A 05AA0D0E
	v_fma_f32 v107, v15, v6, v107                              // 000000004210: D1CB006B 05AE0D0F
	v_mfma_f32_16x16x32_fp8_fp8 v[12:15], a[136:137], a[80:81], 0// 000000004218: D3F3000C 1A02A188
	v_mfma_f32_16x16x32_fp8_fp8 v[12:15], a[138:139], a[82:83], v[12:15]// 000000004220: D3F3000C 1C32A58A
	buffer_load_dword v36, v30, s[28:31], 0 offen              // 000000004228: E0501000 8007241E
	v_mfma_f32_16x16x32_fp8_fp8 v[12:15], a[140:141], a[84:85], v[12:15]// 000000004230: D3F3000C 1C32A98C
	v_mfma_f32_16x16x32_fp8_fp8 v[12:15], a[142:143], a[86:87], v[12:15]// 000000004238: D3F3000C 1C32AD8E
	buffer_load_dword v37, v31, s[28:31], 0 offen              // 000000004240: E0501000 8007251F
	v_fma_f32 v84, v8, v4, v84                                 // 000000004248: D1CB0054 05520908
	v_fma_f32 v85, v9, v4, v85                                 // 000000004250: D1CB0055 05560909
	v_fma_f32 v86, v10, v4, v86                                // 000000004258: D1CB0056 055A090A
	v_fma_f32 v87, v11, v4, v87                                // 000000004260: D1CB0057 055E090B
	v_mul_f32_dpp v6, v25, v47 row_newbcast:0 row_mask:0xf bank_mask:0xf// 000000004268: 0A0C5EFA FF015019
	v_mfma_f32_16x16x32_fp8_fp8 v[8:11], a[128:129], a[88:89], 0// 000000004270: D3F30008 1A02B180
	v_mfma_f32_16x16x32_fp8_fp8 v[8:11], a[130:131], a[90:91], v[8:11]// 000000004278: D3F30008 1C22B582
	buffer_load_dword v38, v32, s[28:31], 0 offen              // 000000004280: E0501000 80072620
	v_mfma_f32_16x16x32_fp8_fp8 v[8:11], a[132:133], a[92:93], v[8:11]// 000000004288: D3F30008 1C22B984
	v_mfma_f32_16x16x32_fp8_fp8 v[8:11], a[134:135], a[94:95], v[8:11]// 000000004290: D3F30008 1C22BD86
	buffer_load_dword v39, v33, s[28:31], 0 offen              // 000000004298: E0501000 80072721
	v_fma_f32 v108, v12, v4, v108                              // 0000000042A0: D1CB006C 05B2090C
	v_fma_f32 v109, v13, v4, v109                              // 0000000042A8: D1CB006D 05B6090D
	v_fma_f32 v110, v14, v4, v110                              // 0000000042B0: D1CB006E 05BA090E
	v_fma_f32 v111, v15, v4, v111                              // 0000000042B8: D1CB006F 05BE090F
	v_mfma_f32_16x16x32_fp8_fp8 v[12:15], a[136:137], a[88:89], 0// 0000000042C0: D3F3000C 1A02B188
	v_mfma_f32_16x16x32_fp8_fp8 v[12:15], a[138:139], a[90:91], v[12:15]// 0000000042C8: D3F3000C 1C32B58A
	buffer_load_dword v40, v34, s[28:31], 0 offen              // 0000000042D0: E0501000 80072822
	v_mfma_f32_16x16x32_fp8_fp8 v[12:15], a[140:141], a[92:93], v[12:15]// 0000000042D8: D3F3000C 1C32B98C
	v_mfma_f32_16x16x32_fp8_fp8 v[12:15], a[142:143], a[94:95], v[12:15]// 0000000042E0: D3F3000C 1C32BD8E
	buffer_load_dword v41, v35, s[28:31], 0 offen              // 0000000042E8: E0501000 80072923
	v_fma_f32 v88, v8, v6, v88                                 // 0000000042F0: D1CB0058 05620D08
	v_fma_f32 v89, v9, v6, v89                                 // 0000000042F8: D1CB0059 05660D09
	v_fma_f32 v90, v10, v6, v90                                // 000000004300: D1CB005A 056A0D0A
	v_fma_f32 v91, v11, v6, v91                                // 000000004308: D1CB005B 056E0D0B
	v_fma_f32 v112, v12, v6, v112                              // 000000004310: D1CB0070 05C20D0C
	v_fma_f32 v113, v13, v6, v113                              // 000000004318: D1CB0071 05C60D0D
	v_fma_f32 v114, v14, v6, v114                              // 000000004320: D1CB0072 05CA0D0E
	v_fma_f32 v115, v15, v6, v115                              // 000000004328: D1CB0073 05CE0D0F
	s_waitcnt vmcnt(23)                                        // 000000004330: BF8C4F77
	s_barrier                                                  // 000000004334: BF8A0000
	v_mul_f32_dpp v4, v28, v42 row_newbcast:0 row_mask:0xf bank_mask:0xf// 000000004338: 0A0854FA FF01501C
	v_mfma_f32_16x16x32_fp8_fp8 v[8:11], a[96:97], a[48:49], 0 // 000000004340: D3F30008 1A026160
	buffer_load_dword v29, v23, s[32:35], 0 offen              // 000000004348: E0501000 80081D17
	v_mfma_f32_16x16x32_fp8_fp8 v[8:11], a[98:99], a[50:51], v[8:11]// 000000004350: D3F30008 1C226562
	buffer_load_dwordx4 a[128:131], v66, s[84:87], 0 offen     // 000000004358: E05C1000 80958042
	v_mfma_f32_16x16x32_fp8_fp8 v[8:11], a[100:101], a[52:53], v[8:11]// 000000004360: D3F30008 1C226964
	v_mfma_f32_16x16x32_fp8_fp8 v[8:11], a[102:103], a[54:55], v[8:11]// 000000004368: D3F30008 1C226D66
	ds_read_b128 a[0:3], v2 offset:24832                       // 000000004370: DBFE6100 00000002
	ds_read_b128 a[4:7], v2 offset:24896                       // 000000004378: DBFE6140 04000002
	v_mfma_f32_16x16x32_fp8_fp8 v[12:15], a[104:105], a[48:49], 0// 000000004380: D3F3000C 1A026168
	v_mfma_f32_16x16x32_fp8_fp8 v[12:15], a[106:107], a[50:51], v[12:15]// 000000004388: D3F3000C 1C32656A
	buffer_load_dwordx4 a[132:135], v66, s[84:87], 0 offen offset:1024// 000000004390: E05C1400 80958442
	v_mfma_f32_16x16x32_fp8_fp8 v[12:15], a[108:109], a[52:53], v[12:15]// 000000004398: D3F3000C 1C32696C
	v_mfma_f32_16x16x32_fp8_fp8 v[12:15], a[110:111], a[54:55], v[12:15]// 0000000043A0: D3F3000C 1C326D6E
	ds_read_b128 a[8:11], v2 offset:25344                      // 0000000043A8: DBFE6300 08000002
	ds_read_b128 a[12:15], v2 offset:25408                     // 0000000043B0: DBFE6340 0C000002
	v_fma_f32 v116, v8, v4, v116                               // 0000000043B8: D1CB0074 05D20908
	v_fma_f32 v117, v9, v4, v117                               // 0000000043C0: D1CB0075 05D60909
	v_fma_f32 v118, v10, v4, v118                              // 0000000043C8: D1CB0076 05DA090A
	v_fma_f32 v119, v11, v4, v119                              // 0000000043D0: D1CB0077 05DE090B
	v_mul_f32_dpp v6, v28, v43 row_newbcast:0 row_mask:0xf bank_mask:0xf// 0000000043D8: 0A0C56FA FF01501C
	v_mfma_f32_16x16x32_fp8_fp8 v[8:11], a[96:97], a[56:57], 0 // 0000000043E0: D3F30008 1A027160
	v_mfma_f32_16x16x32_fp8_fp8 v[8:11], a[98:99], a[58:59], v[8:11]// 0000000043E8: D3F30008 1C227562
	buffer_load_dwordx4 a[136:139], v67, s[84:87], 0 offen     // 0000000043F0: E05C1000 80958843
	v_mfma_f32_16x16x32_fp8_fp8 v[8:11], a[100:101], a[60:61], v[8:11]// 0000000043F8: D3F30008 1C227964
	v_mfma_f32_16x16x32_fp8_fp8 v[8:11], a[102:103], a[62:63], v[8:11]// 000000004400: D3F30008 1C227D66
	ds_read_b128 a[16:19], v2 offset:25856                     // 000000004408: DBFE6500 10000002
	ds_read_b128 a[20:23], v2 offset:25920                     // 000000004410: DBFE6540 14000002
	v_fma_f32 v140, v12, v4, v140                              // 000000004418: D1CB008C 0632090C
	v_fma_f32 v141, v13, v4, v141                              // 000000004420: D1CB008D 0636090D
	v_fma_f32 v142, v14, v4, v142                              // 000000004428: D1CB008E 063A090E
	v_fma_f32 v143, v15, v4, v143                              // 000000004430: D1CB008F 063E090F
	v_mfma_f32_16x16x32_fp8_fp8 v[12:15], a[104:105], a[56:57], 0// 000000004438: D3F3000C 1A027168
	v_mfma_f32_16x16x32_fp8_fp8 v[12:15], a[106:107], a[58:59], v[12:15]// 000000004440: D3F3000C 1C32756A
	buffer_load_dwordx4 a[140:143], v67, s[84:87], 0 offen offset:1024// 000000004448: E05C1400 80958C43
	v_mfma_f32_16x16x32_fp8_fp8 v[12:15], a[108:109], a[60:61], v[12:15]// 000000004450: D3F3000C 1C32796C
	v_mfma_f32_16x16x32_fp8_fp8 v[12:15], a[110:111], a[62:63], v[12:15]// 000000004458: D3F3000C 1C327D6E
	ds_read_b128 a[24:27], v2 offset:26368                     // 000000004460: DBFE6700 18000002
	ds_read_b128 a[28:31], v2 offset:26432                     // 000000004468: DBFE6740 1C000002
	v_fma_f32 v120, v8, v6, v120                               // 000000004470: D1CB0078 05E20D08
	v_fma_f32 v121, v9, v6, v121                               // 000000004478: D1CB0079 05E60D09
	v_fma_f32 v122, v10, v6, v122                              // 000000004480: D1CB007A 05EA0D0A
	v_fma_f32 v123, v11, v6, v123                              // 000000004488: D1CB007B 05EE0D0B
	v_mul_f32_dpp v4, v28, v44 row_newbcast:0 row_mask:0xf bank_mask:0xf// 000000004490: 0A0858FA FF01501C
	v_mfma_f32_16x16x32_fp8_fp8 v[8:11], a[96:97], a[64:65], 0 // 000000004498: D3F30008 1A028160
	v_mfma_f32_16x16x32_fp8_fp8 v[8:11], a[98:99], a[66:67], v[8:11]// 0000000044A0: D3F30008 1C228562
	v_mfma_f32_16x16x32_fp8_fp8 v[8:11], a[100:101], a[68:69], v[8:11]// 0000000044A8: D3F30008 1C228964
	v_mfma_f32_16x16x32_fp8_fp8 v[8:11], a[102:103], a[70:71], v[8:11]// 0000000044B0: D3F30008 1C228D66
	ds_read_b128 a[32:35], v2 offset:26880                     // 0000000044B8: DBFE6900 20000002
	ds_read_b128 a[36:39], v2 offset:26944                     // 0000000044C0: DBFE6940 24000002
	v_fma_f32 v144, v12, v6, v144                              // 0000000044C8: D1CB0090 06420D0C
	v_fma_f32 v145, v13, v6, v145                              // 0000000044D0: D1CB0091 06460D0D
	v_fma_f32 v146, v14, v6, v146                              // 0000000044D8: D1CB0092 064A0D0E
	v_fma_f32 v147, v15, v6, v147                              // 0000000044E0: D1CB0093 064E0D0F
	v_mfma_f32_16x16x32_fp8_fp8 v[12:15], a[104:105], a[64:65], 0// 0000000044E8: D3F3000C 1A028168
	v_mfma_f32_16x16x32_fp8_fp8 v[12:15], a[106:107], a[66:67], v[12:15]// 0000000044F0: D3F3000C 1C32856A
	v_mfma_f32_16x16x32_fp8_fp8 v[12:15], a[108:109], a[68:69], v[12:15]// 0000000044F8: D3F3000C 1C32896C
	v_mfma_f32_16x16x32_fp8_fp8 v[12:15], a[110:111], a[70:71], v[12:15]// 000000004500: D3F3000C 1C328D6E
	ds_read_b128 a[40:43], v2 offset:27392                     // 000000004508: DBFE6B00 28000002
	ds_read_b128 a[44:47], v2 offset:27456                     // 000000004510: DBFE6B40 2C000002
	v_fma_f32 v124, v8, v4, v124                               // 000000004518: D1CB007C 05F20908
	v_fma_f32 v125, v9, v4, v125                               // 000000004520: D1CB007D 05F60909
	v_fma_f32 v126, v10, v4, v126                              // 000000004528: D1CB007E 05FA090A
	v_fma_f32 v127, v11, v4, v127                              // 000000004530: D1CB007F 05FE090B
	v_mul_f32_dpp v6, v28, v45 row_newbcast:0 row_mask:0xf bank_mask:0xf// 000000004538: 0A0C5AFA FF01501C
	v_mfma_f32_16x16x32_fp8_fp8 v[8:11], a[96:97], a[72:73], 0 // 000000004540: D3F30008 1A029160
	v_mfma_f32_16x16x32_fp8_fp8 v[8:11], a[98:99], a[74:75], v[8:11]// 000000004548: D3F30008 1C229562
	v_mfma_f32_16x16x32_fp8_fp8 v[8:11], a[100:101], a[76:77], v[8:11]// 000000004550: D3F30008 1C229964
	v_mfma_f32_16x16x32_fp8_fp8 v[8:11], a[102:103], a[78:79], v[8:11]// 000000004558: D3F30008 1C229D66
	v_fma_f32 v148, v12, v4, v148                              // 000000004560: D1CB0094 0652090C
	v_fma_f32 v149, v13, v4, v149                              // 000000004568: D1CB0095 0656090D
	v_fma_f32 v150, v14, v4, v150                              // 000000004570: D1CB0096 065A090E
	v_fma_f32 v151, v15, v4, v151                              // 000000004578: D1CB0097 065E090F
	v_mfma_f32_16x16x32_fp8_fp8 v[12:15], a[104:105], a[72:73], 0// 000000004580: D3F3000C 1A029168
	v_mfma_f32_16x16x32_fp8_fp8 v[12:15], a[106:107], a[74:75], v[12:15]// 000000004588: D3F3000C 1C32956A
	v_mfma_f32_16x16x32_fp8_fp8 v[12:15], a[108:109], a[76:77], v[12:15]// 000000004590: D3F3000C 1C32996C
	v_mfma_f32_16x16x32_fp8_fp8 v[12:15], a[110:111], a[78:79], v[12:15]// 000000004598: D3F3000C 1C329D6E
	v_fma_f32 v128, v8, v6, v128                               // 0000000045A0: D1CB0080 06020D08
	v_fma_f32 v129, v9, v6, v129                               // 0000000045A8: D1CB0081 06060D09
	v_fma_f32 v130, v10, v6, v130                              // 0000000045B0: D1CB0082 060A0D0A
	v_fma_f32 v131, v11, v6, v131                              // 0000000045B8: D1CB0083 060E0D0B
	v_mul_f32_dpp v4, v28, v46 row_newbcast:0 row_mask:0xf bank_mask:0xf// 0000000045C0: 0A085CFA FF01501C
	v_mfma_f32_16x16x32_fp8_fp8 v[8:11], a[96:97], a[80:81], 0 // 0000000045C8: D3F30008 1A02A160
	v_mfma_f32_16x16x32_fp8_fp8 v[8:11], a[98:99], a[82:83], v[8:11]// 0000000045D0: D3F30008 1C22A562
	v_mfma_f32_16x16x32_fp8_fp8 v[8:11], a[100:101], a[84:85], v[8:11]// 0000000045D8: D3F30008 1C22A964
	v_mfma_f32_16x16x32_fp8_fp8 v[8:11], a[102:103], a[86:87], v[8:11]// 0000000045E0: D3F30008 1C22AD66
	v_fma_f32 v152, v12, v6, v152                              // 0000000045E8: D1CB0098 06620D0C
	v_fma_f32 v153, v13, v6, v153                              // 0000000045F0: D1CB0099 06660D0D
	v_fma_f32 v154, v14, v6, v154                              // 0000000045F8: D1CB009A 066A0D0E
	v_fma_f32 v155, v15, v6, v155                              // 000000004600: D1CB009B 066E0D0F
	v_mfma_f32_16x16x32_fp8_fp8 v[12:15], a[104:105], a[80:81], 0// 000000004608: D3F3000C 1A02A168
	v_mfma_f32_16x16x32_fp8_fp8 v[12:15], a[106:107], a[82:83], v[12:15]// 000000004610: D3F3000C 1C32A56A
	v_mfma_f32_16x16x32_fp8_fp8 v[12:15], a[108:109], a[84:85], v[12:15]// 000000004618: D3F3000C 1C32A96C
	v_mfma_f32_16x16x32_fp8_fp8 v[12:15], a[110:111], a[86:87], v[12:15]// 000000004620: D3F3000C 1C32AD6E
	v_fma_f32 v132, v8, v4, v132                               // 000000004628: D1CB0084 06120908
	v_fma_f32 v133, v9, v4, v133                               // 000000004630: D1CB0085 06160909
	v_fma_f32 v134, v10, v4, v134                              // 000000004638: D1CB0086 061A090A
	v_fma_f32 v135, v11, v4, v135                              // 000000004640: D1CB0087 061E090B
	v_mul_f32_dpp v6, v28, v47 row_newbcast:0 row_mask:0xf bank_mask:0xf// 000000004648: 0A0C5EFA FF01501C
	v_mfma_f32_16x16x32_fp8_fp8 v[8:11], a[96:97], a[88:89], 0 // 000000004650: D3F30008 1A02B160
	s_add_u32 s60, 0x180, s80                                  // 000000004658: 803C50FF 00000180
	s_cmp_lt_u32 s60, s81                                      // 000000004660: BF0A513C
	s_cselect_b32 s57, s57, 0                                  // 000000004664: 85398039
	s_cselect_b32 s3, s3, 0                                    // 000000004668: 85038003
	v_mfma_f32_16x16x32_fp8_fp8 v[8:11], a[98:99], a[90:91], v[8:11]// 00000000466C: D3F30008 1C22B562
	s_add_u32 s60, 0x100, s80                                  // 000000004674: 803C50FF 00000100
	s_cmp_lt_u32 s60, s81                                      // 00000000467C: BF0A513C
	s_cselect_b32 s58, s58, 0                                  // 000000004680: 853A803A
	v_mfma_f32_16x16x32_fp8_fp8 v[8:11], a[100:101], a[92:93], v[8:11]// 000000004684: D3F30008 1C22B964
	s_add_u32 s60, 0x100, s80                                  // 00000000468C: 803C50FF 00000100
	s_cmp_lt_u32 s60, s81                                      // 000000004694: BF0A513C
	s_cselect_b32 s83, s83, 0                                  // 000000004698: 85538053
	s_cselect_b32 s4, s4, 0                                    // 00000000469C: 85048004
	v_mfma_f32_16x16x32_fp8_fp8 v[8:11], a[102:103], a[94:95], v[8:11]// 0000000046A0: D3F30008 1C22BD66
	s_add_u32 s24, s58, s24                                    // 0000000046A8: 8018183A
	s_addc_u32 s25, 0, s25                                     // 0000000046AC: 82191980
	v_fma_f32 v156, v12, v4, v156                              // 0000000046B0: D1CB009C 0672090C
	v_fma_f32 v157, v13, v4, v157                              // 0000000046B8: D1CB009D 0676090D
	v_fma_f32 v158, v14, v4, v158                              // 0000000046C0: D1CB009E 067A090E
	v_fma_f32 v159, v15, v4, v159                              // 0000000046C8: D1CB009F 067E090F
	v_mfma_f32_16x16x32_fp8_fp8 v[12:15], a[104:105], a[88:89], 0// 0000000046D0: D3F3000C 1A02B168
	s_add_u32 s20, s57, s20                                    // 0000000046D8: 80141439
	s_addc_u32 s21, 0, s21                                     // 0000000046DC: 82151580
	s_add_u32 s28, s3, s28                                     // 0000000046E0: 801C1C03
	s_addc_u32 s29, 0, s29                                     // 0000000046E4: 821D1D80
	v_mfma_f32_16x16x32_fp8_fp8 v[12:15], a[106:107], a[90:91], v[12:15]// 0000000046E8: D3F3000C 1C32B56A
	s_add_u32 s84, s83, s84                                    // 0000000046F0: 80545453
	s_addc_u32 s85, 0, s85                                     // 0000000046F4: 82555580
	v_mfma_f32_16x16x32_fp8_fp8 v[12:15], a[108:109], a[92:93], v[12:15]// 0000000046F8: D3F3000C 1C32B96C
	s_add_u32 s32, s4, s32                                     // 000000004700: 80202004
	s_addc_u32 s33, 0, s33                                     // 000000004704: 82212180
	v_mfma_f32_16x16x32_fp8_fp8 v[12:15], a[110:111], a[94:95], v[12:15]// 000000004708: D3F3000C 1C32BD6E
	v_fma_f32 v136, v8, v6, v136                               // 000000004710: D1CB0088 06220D08
	v_fma_f32 v137, v9, v6, v137                               // 000000004718: D1CB0089 06260D09
	v_fma_f32 v138, v10, v6, v138                              // 000000004720: D1CB008A 062A0D0A
	v_fma_f32 v139, v11, v6, v139                              // 000000004728: D1CB008B 062E0D0B
	v_fma_f32 v160, v12, v6, v160                              // 000000004730: D1CB00A0 06820D0C
	v_fma_f32 v161, v13, v6, v161                              // 000000004738: D1CB00A1 06860D0D
	v_fma_f32 v162, v14, v6, v162                              // 000000004740: D1CB00A2 068A0D0E
	v_fma_f32 v163, v15, v6, v163                              // 000000004748: D1CB00A3 068E0D0F
	s_addk_i32 s80, 0x80                                       // 000000004750: B7500080
	s_cmp_lt_i32 s80, s81                                      // 000000004754: BF045150
	s_cbranch_scc0 label_0FCC                                  // 000000004758: BF840875
	s_waitcnt vmcnt(23) lgkmcnt(0)                             // 00000000475C: BF8C4077
	v_mul_f32_dpp v4, v26, v48 row_newbcast:0 row_mask:0xf bank_mask:0xf// 000000004760: 0A0860FA FF01501A
	v_mfma_f32_16x16x32_fp8_fp8 v[8:11], a[112:113], a[0:1], 0 // 000000004768: D3F30008 1A020170
	buffer_load_dword v24, v22, s[32:35], 0 offen              // 000000004770: E0501000 80081816
	v_mfma_f32_16x16x32_fp8_fp8 v[8:11], a[114:115], a[2:3], v[8:11]// 000000004778: D3F30008 1C220572
	buffer_load_dwordx4 a[96:99], v66, s[24:27], 0 offen       // 000000004780: E05C1000 80866042
	v_mfma_f32_16x16x32_fp8_fp8 v[8:11], a[116:117], a[4:5], v[8:11]// 000000004788: D3F30008 1C220974
	v_mfma_f32_16x16x32_fp8_fp8 v[8:11], a[118:119], a[6:7], v[8:11]// 000000004790: D3F30008 1C220D76
	v_mfma_f32_16x16x32_fp8_fp8 v[12:15], a[120:121], a[0:1], 0// 000000004798: D3F3000C 1A020178
	v_mfma_f32_16x16x32_fp8_fp8 v[12:15], a[122:123], a[2:3], v[12:15]// 0000000047A0: D3F3000C 1C32057A
	buffer_load_dwordx4 a[100:103], v66, s[24:27], 0 offen offset:1024// 0000000047A8: E05C1400 80866442
	v_mfma_f32_16x16x32_fp8_fp8 v[12:15], a[124:125], a[4:5], v[12:15]// 0000000047B0: D3F3000C 1C32097C
	v_mfma_f32_16x16x32_fp8_fp8 v[12:15], a[126:127], a[6:7], v[12:15]// 0000000047B8: D3F3000C 1C320D7E
	v_fma_f32 v68, v8, v4, v68                                 // 0000000047C0: D1CB0044 05120908
	v_fma_f32 v69, v9, v4, v69                                 // 0000000047C8: D1CB0045 05160909
	v_fma_f32 v70, v10, v4, v70                                // 0000000047D0: D1CB0046 051A090A
	v_fma_f32 v71, v11, v4, v71                                // 0000000047D8: D1CB0047 051E090B
	v_mul_f32_dpp v6, v26, v49 row_newbcast:0 row_mask:0xf bank_mask:0xf// 0000000047E0: 0A0C62FA FF01501A
	v_mfma_f32_16x16x32_fp8_fp8 v[8:11], a[112:113], a[8:9], 0 // 0000000047E8: D3F30008 1A021170
	v_mfma_f32_16x16x32_fp8_fp8 v[8:11], a[114:115], a[10:11], v[8:11]// 0000000047F0: D3F30008 1C221572
	buffer_load_dwordx4 a[104:107], v67, s[24:27], 0 offen     // 0000000047F8: E05C1000 80866843
	v_mfma_f32_16x16x32_fp8_fp8 v[8:11], a[116:117], a[12:13], v[8:11]// 000000004800: D3F30008 1C221974
	v_mfma_f32_16x16x32_fp8_fp8 v[8:11], a[118:119], a[14:15], v[8:11]// 000000004808: D3F30008 1C221D76
	v_fma_f32 v92, v12, v4, v92                                // 000000004810: D1CB005C 0572090C
	v_fma_f32 v93, v13, v4, v93                                // 000000004818: D1CB005D 0576090D
	v_fma_f32 v94, v14, v4, v94                                // 000000004820: D1CB005E 057A090E
	v_fma_f32 v95, v15, v4, v95                                // 000000004828: D1CB005F 057E090F
	v_mfma_f32_16x16x32_fp8_fp8 v[12:15], a[120:121], a[8:9], 0// 000000004830: D3F3000C 1A021178
	v_mfma_f32_16x16x32_fp8_fp8 v[12:15], a[122:123], a[10:11], v[12:15]// 000000004838: D3F3000C 1C32157A
	buffer_load_dwordx4 a[108:111], v67, s[24:27], 0 offen offset:1024// 000000004840: E05C1400 80866C43
	buffer_load_dword v54, s[20:23], 0 offen lds               // 000000004848: E0511000 80050036
	s_add_u32 m0, 0x100, s49                                   // 000000004850: 807C31FF 00000100
	v_mfma_f32_16x16x32_fp8_fp8 v[12:15], a[124:125], a[12:13], v[12:15]// 000000004858: D3F3000C 1C32197C
	v_mfma_f32_16x16x32_fp8_fp8 v[12:15], a[126:127], a[14:15], v[12:15]// 000000004860: D3F3000C 1C321D7E
	buffer_load_dword v55, s[20:23], 0 offen lds               // 000000004868: E0511000 80050037
	s_add_u32 m0, 0x200, s49                                   // 000000004870: 807C31FF 00000200
	v_fma_f32 v72, v8, v6, v72                                 // 000000004878: D1CB0048 05220D08
	v_fma_f32 v73, v9, v6, v73                                 // 000000004880: D1CB0049 05260D09
	v_fma_f32 v74, v10, v6, v74                                // 000000004888: D1CB004A 052A0D0A
	v_fma_f32 v75, v11, v6, v75                                // 000000004890: D1CB004B 052E0D0B
	v_mul_f32_dpp v4, v26, v50 row_newbcast:0 row_mask:0xf bank_mask:0xf// 000000004898: 0A0864FA FF01501A
	v_mfma_f32_16x16x32_fp8_fp8 v[8:11], a[112:113], a[16:17], 0// 0000000048A0: D3F30008 1A022170
	v_mfma_f32_16x16x32_fp8_fp8 v[8:11], a[114:115], a[18:19], v[8:11]// 0000000048A8: D3F30008 1C222572
	buffer_load_dword v56, s[20:23], 0 offen lds               // 0000000048B0: E0511000 80050038
	s_add_u32 m0, 0x300, s49                                   // 0000000048B8: 807C31FF 00000300
	v_mfma_f32_16x16x32_fp8_fp8 v[8:11], a[116:117], a[20:21], v[8:11]// 0000000048C0: D3F30008 1C222974
	v_mfma_f32_16x16x32_fp8_fp8 v[8:11], a[118:119], a[22:23], v[8:11]// 0000000048C8: D3F30008 1C222D76
	buffer_load_dword v57, s[20:23], 0 offen lds               // 0000000048D0: E0511000 80050039
	s_add_u32 m0, 0x400, s49                                   // 0000000048D8: 807C31FF 00000400
	v_fma_f32 v96, v12, v6, v96                                // 0000000048E0: D1CB0060 05820D0C
	v_fma_f32 v97, v13, v6, v97                                // 0000000048E8: D1CB0061 05860D0D
	v_fma_f32 v98, v14, v6, v98                                // 0000000048F0: D1CB0062 058A0D0E
	v_fma_f32 v99, v15, v6, v99                                // 0000000048F8: D1CB0063 058E0D0F
	v_mfma_f32_16x16x32_fp8_fp8 v[12:15], a[120:121], a[16:17], 0// 000000004900: D3F3000C 1A022178
	v_mfma_f32_16x16x32_fp8_fp8 v[12:15], a[122:123], a[18:19], v[12:15]// 000000004908: D3F3000C 1C32257A
	buffer_load_dword v58, s[20:23], 0 offen lds               // 000000004910: E0511000 8005003A
	s_add_u32 m0, 0x500, s49                                   // 000000004918: 807C31FF 00000500
	v_mfma_f32_16x16x32_fp8_fp8 v[12:15], a[124:125], a[20:21], v[12:15]// 000000004920: D3F3000C 1C32297C
	v_mfma_f32_16x16x32_fp8_fp8 v[12:15], a[126:127], a[22:23], v[12:15]// 000000004928: D3F3000C 1C322D7E
	buffer_load_dword v59, s[20:23], 0 offen lds               // 000000004930: E0511000 8005003B
	s_add_u32 m0, 0x600, s49                                   // 000000004938: 807C31FF 00000600
	v_fma_f32 v76, v8, v4, v76                                 // 000000004940: D1CB004C 05320908
	v_fma_f32 v77, v9, v4, v77                                 // 000000004948: D1CB004D 05360909
	v_fma_f32 v78, v10, v4, v78                                // 000000004950: D1CB004E 053A090A
	v_fma_f32 v79, v11, v4, v79                                // 000000004958: D1CB004F 053E090B
	v_mul_f32_dpp v6, v26, v51 row_newbcast:0 row_mask:0xf bank_mask:0xf// 000000004960: 0A0C66FA FF01501A
	v_mfma_f32_16x16x32_fp8_fp8 v[8:11], a[112:113], a[24:25], 0// 000000004968: D3F30008 1A023170
	v_mfma_f32_16x16x32_fp8_fp8 v[8:11], a[114:115], a[26:27], v[8:11]// 000000004970: D3F30008 1C223572
	buffer_load_dword v60, s[20:23], 0 offen lds               // 000000004978: E0511000 8005003C
	s_add_u32 m0, 0x700, s49                                   // 000000004980: 807C31FF 00000700
	v_mfma_f32_16x16x32_fp8_fp8 v[8:11], a[116:117], a[28:29], v[8:11]// 000000004988: D3F30008 1C223974
	v_mfma_f32_16x16x32_fp8_fp8 v[8:11], a[118:119], a[30:31], v[8:11]// 000000004990: D3F30008 1C223D76
	buffer_load_dword v61, s[20:23], 0 offen lds               // 000000004998: E0511000 8005003D
	s_add_u32 m0, 0x800, s49                                   // 0000000049A0: 807C31FF 00000800
	v_fma_f32 v100, v12, v4, v100                              // 0000000049A8: D1CB0064 0592090C
	v_fma_f32 v101, v13, v4, v101                              // 0000000049B0: D1CB0065 0596090D
	v_fma_f32 v102, v14, v4, v102                              // 0000000049B8: D1CB0066 059A090E
	v_fma_f32 v103, v15, v4, v103                              // 0000000049C0: D1CB0067 059E090F
	v_mfma_f32_16x16x32_fp8_fp8 v[12:15], a[120:121], a[24:25], 0// 0000000049C8: D3F3000C 1A023178
	v_mfma_f32_16x16x32_fp8_fp8 v[12:15], a[122:123], a[26:27], v[12:15]// 0000000049D0: D3F3000C 1C32357A
	buffer_load_dword v62, s[20:23], 0 offen lds               // 0000000049D8: E0511000 8005003E
	s_add_u32 m0, 0x900, s49                                   // 0000000049E0: 807C31FF 00000900
	v_mfma_f32_16x16x32_fp8_fp8 v[12:15], a[124:125], a[28:29], v[12:15]// 0000000049E8: D3F3000C 1C32397C
	v_mfma_f32_16x16x32_fp8_fp8 v[12:15], a[126:127], a[30:31], v[12:15]// 0000000049F0: D3F3000C 1C323D7E
	buffer_load_dword v63, s[20:23], 0 offen lds               // 0000000049F8: E0511000 8005003F
	s_add_u32 m0, 0xa00, s49                                   // 000000004A00: 807C31FF 00000A00
	v_fma_f32 v80, v8, v6, v80                                 // 000000004A08: D1CB0050 05420D08
	v_fma_f32 v81, v9, v6, v81                                 // 000000004A10: D1CB0051 05460D09
	v_fma_f32 v82, v10, v6, v82                                // 000000004A18: D1CB0052 054A0D0A
	v_fma_f32 v83, v11, v6, v83                                // 000000004A20: D1CB0053 054E0D0B
	v_mul_f32_dpp v4, v26, v52 row_newbcast:0 row_mask:0xf bank_mask:0xf// 000000004A28: 0A0868FA FF01501A
	v_mfma_f32_16x16x32_fp8_fp8 v[8:11], a[112:113], a[32:33], 0// 000000004A30: D3F30008 1A024170
	v_mfma_f32_16x16x32_fp8_fp8 v[8:11], a[114:115], a[34:35], v[8:11]// 000000004A38: D3F30008 1C224572
	buffer_load_dword v64, s[20:23], 0 offen lds               // 000000004A40: E0511000 80050040
	s_add_u32 m0, 0xb00, s49                                   // 000000004A48: 807C31FF 00000B00
	v_mfma_f32_16x16x32_fp8_fp8 v[8:11], a[116:117], a[36:37], v[8:11]// 000000004A50: D3F30008 1C224974
	v_mfma_f32_16x16x32_fp8_fp8 v[8:11], a[118:119], a[38:39], v[8:11]// 000000004A58: D3F30008 1C224D76
	buffer_load_dword v65, s[20:23], 0 offen lds               // 000000004A60: E0511000 80050041
	s_add_u32 m0, 0, s50                                       // 000000004A68: 807C3280
	v_fma_f32 v104, v12, v6, v104                              // 000000004A6C: D1CB0068 05A20D0C
	v_fma_f32 v105, v13, v6, v105                              // 000000004A74: D1CB0069 05A60D0D
	v_fma_f32 v106, v14, v6, v106                              // 000000004A7C: D1CB006A 05AA0D0E
	v_fma_f32 v107, v15, v6, v107                              // 000000004A84: D1CB006B 05AE0D0F
	v_mfma_f32_16x16x32_fp8_fp8 v[12:15], a[120:121], a[32:33], 0// 000000004A8C: D3F3000C 1A024178
	v_mfma_f32_16x16x32_fp8_fp8 v[12:15], a[122:123], a[34:35], v[12:15]// 000000004A94: D3F3000C 1C32457A
	buffer_load_dword v42, v30, s[28:31], 0 offen              // 000000004A9C: E0501000 80072A1E
	v_mfma_f32_16x16x32_fp8_fp8 v[12:15], a[124:125], a[36:37], v[12:15]// 000000004AA4: D3F3000C 1C32497C
	v_mfma_f32_16x16x32_fp8_fp8 v[12:15], a[126:127], a[38:39], v[12:15]// 000000004AAC: D3F3000C 1C324D7E
	buffer_load_dword v43, v31, s[28:31], 0 offen              // 000000004AB4: E0501000 80072B1F
	v_fma_f32 v84, v8, v4, v84                                 // 000000004ABC: D1CB0054 05520908
	v_fma_f32 v85, v9, v4, v85                                 // 000000004AC4: D1CB0055 05560909
	v_fma_f32 v86, v10, v4, v86                                // 000000004ACC: D1CB0056 055A090A
	v_fma_f32 v87, v11, v4, v87                                // 000000004AD4: D1CB0057 055E090B
	v_mul_f32_dpp v6, v26, v53 row_newbcast:0 row_mask:0xf bank_mask:0xf// 000000004ADC: 0A0C6AFA FF01501A
	v_mfma_f32_16x16x32_fp8_fp8 v[8:11], a[112:113], a[40:41], 0// 000000004AE4: D3F30008 1A025170
	v_mfma_f32_16x16x32_fp8_fp8 v[8:11], a[114:115], a[42:43], v[8:11]// 000000004AEC: D3F30008 1C225572
	buffer_load_dword v44, v32, s[28:31], 0 offen              // 000000004AF4: E0501000 80072C20
	v_mfma_f32_16x16x32_fp8_fp8 v[8:11], a[116:117], a[44:45], v[8:11]// 000000004AFC: D3F30008 1C225974
	v_mfma_f32_16x16x32_fp8_fp8 v[8:11], a[118:119], a[46:47], v[8:11]// 000000004B04: D3F30008 1C225D76
	buffer_load_dword v45, v33, s[28:31], 0 offen              // 000000004B0C: E0501000 80072D21
	v_fma_f32 v108, v12, v4, v108                              // 000000004B14: D1CB006C 05B2090C
	v_fma_f32 v109, v13, v4, v109                              // 000000004B1C: D1CB006D 05B6090D
	v_fma_f32 v110, v14, v4, v110                              // 000000004B24: D1CB006E 05BA090E
	v_fma_f32 v111, v15, v4, v111                              // 000000004B2C: D1CB006F 05BE090F
	v_mfma_f32_16x16x32_fp8_fp8 v[12:15], a[120:121], a[40:41], 0// 000000004B34: D3F3000C 1A025178
	v_mfma_f32_16x16x32_fp8_fp8 v[12:15], a[122:123], a[42:43], v[12:15]// 000000004B3C: D3F3000C 1C32557A
	buffer_load_dword v46, v34, s[28:31], 0 offen              // 000000004B44: E0501000 80072E22
	v_mfma_f32_16x16x32_fp8_fp8 v[12:15], a[124:125], a[44:45], v[12:15]// 000000004B4C: D3F3000C 1C32597C
	v_mfma_f32_16x16x32_fp8_fp8 v[12:15], a[126:127], a[46:47], v[12:15]// 000000004B54: D3F3000C 1C325D7E
	buffer_load_dword v47, v35, s[28:31], 0 offen              // 000000004B5C: E0501000 80072F23
	v_fma_f32 v88, v8, v6, v88                                 // 000000004B64: D1CB0058 05620D08
	v_fma_f32 v89, v9, v6, v89                                 // 000000004B6C: D1CB0059 05660D09
	v_fma_f32 v90, v10, v6, v90                                // 000000004B74: D1CB005A 056A0D0A
	v_fma_f32 v91, v11, v6, v91                                // 000000004B7C: D1CB005B 056E0D0B
	v_fma_f32 v112, v12, v6, v112                              // 000000004B84: D1CB0070 05C20D0C
	v_fma_f32 v113, v13, v6, v113                              // 000000004B8C: D1CB0071 05C60D0D
	v_fma_f32 v114, v14, v6, v114                              // 000000004B94: D1CB0072 05CA0D0E
	v_fma_f32 v115, v15, v6, v115                              // 000000004B9C: D1CB0073 05CE0D0F
	s_waitcnt vmcnt(23)                                        // 000000004BA4: BF8C4F77
	s_barrier                                                  // 000000004BA8: BF8A0000
	v_mul_f32_dpp v4, v29, v48 row_newbcast:0 row_mask:0xf bank_mask:0xf// 000000004BAC: 0A0860FA FF01501D
	v_mfma_f32_16x16x32_fp8_fp8 v[8:11], a[128:129], a[0:1], 0 // 000000004BB4: D3F30008 1A020180
	buffer_load_dword v27, v23, s[32:35], 0 offen              // 000000004BBC: E0501000 80081B17
	v_mfma_f32_16x16x32_fp8_fp8 v[8:11], a[130:131], a[2:3], v[8:11]// 000000004BC4: D3F30008 1C220582
	buffer_load_dwordx4 a[112:115], v66, s[84:87], 0 offen     // 000000004BCC: E05C1000 80957042
	v_mfma_f32_16x16x32_fp8_fp8 v[8:11], a[132:133], a[4:5], v[8:11]// 000000004BD4: D3F30008 1C220984
	v_mfma_f32_16x16x32_fp8_fp8 v[8:11], a[134:135], a[6:7], v[8:11]// 000000004BDC: D3F30008 1C220D86
	ds_read_b128 a[48:51], v2                                  // 000000004BE4: DBFE0000 30000002
	ds_read_b128 a[52:55], v2 offset:64                        // 000000004BEC: DBFE0040 34000002
	v_mfma_f32_16x16x32_fp8_fp8 v[12:15], a[136:137], a[0:1], 0// 000000004BF4: D3F3000C 1A020188
	v_mfma_f32_16x16x32_fp8_fp8 v[12:15], a[138:139], a[2:3], v[12:15]// 000000004BFC: D3F3000C 1C32058A
	buffer_load_dwordx4 a[116:119], v66, s[84:87], 0 offen offset:1024// 000000004C04: E05C1400 80957442
	v_mfma_f32_16x16x32_fp8_fp8 v[12:15], a[140:141], a[4:5], v[12:15]// 000000004C0C: D3F3000C 1C32098C
	v_mfma_f32_16x16x32_fp8_fp8 v[12:15], a[142:143], a[6:7], v[12:15]// 000000004C14: D3F3000C 1C320D8E
	ds_read_b128 a[56:59], v2 offset:512                       // 000000004C1C: DBFE0200 38000002
	ds_read_b128 a[60:63], v2 offset:576                       // 000000004C24: DBFE0240 3C000002
	v_fma_f32 v116, v8, v4, v116                               // 000000004C2C: D1CB0074 05D20908
	v_fma_f32 v117, v9, v4, v117                               // 000000004C34: D1CB0075 05D60909
	v_fma_f32 v118, v10, v4, v118                              // 000000004C3C: D1CB0076 05DA090A
	v_fma_f32 v119, v11, v4, v119                              // 000000004C44: D1CB0077 05DE090B
	v_mul_f32_dpp v6, v29, v49 row_newbcast:0 row_mask:0xf bank_mask:0xf// 000000004C4C: 0A0C62FA FF01501D
	v_mfma_f32_16x16x32_fp8_fp8 v[8:11], a[128:129], a[8:9], 0 // 000000004C54: D3F30008 1A021180
	v_mfma_f32_16x16x32_fp8_fp8 v[8:11], a[130:131], a[10:11], v[8:11]// 000000004C5C: D3F30008 1C221582
	buffer_load_dwordx4 a[120:123], v67, s[84:87], 0 offen     // 000000004C64: E05C1000 80957843
	v_mfma_f32_16x16x32_fp8_fp8 v[8:11], a[132:133], a[12:13], v[8:11]// 000000004C6C: D3F30008 1C221984
	v_mfma_f32_16x16x32_fp8_fp8 v[8:11], a[134:135], a[14:15], v[8:11]// 000000004C74: D3F30008 1C221D86
	ds_read_b128 a[64:67], v2 offset:1024                      // 000000004C7C: DBFE0400 40000002
	ds_read_b128 a[68:71], v2 offset:1088                      // 000000004C84: DBFE0440 44000002
	v_fma_f32 v140, v12, v4, v140                              // 000000004C8C: D1CB008C 0632090C
	v_fma_f32 v141, v13, v4, v141                              // 000000004C94: D1CB008D 0636090D
	v_fma_f32 v142, v14, v4, v142                              // 000000004C9C: D1CB008E 063A090E
	v_fma_f32 v143, v15, v4, v143                              // 000000004CA4: D1CB008F 063E090F
	v_mfma_f32_16x16x32_fp8_fp8 v[12:15], a[136:137], a[8:9], 0// 000000004CAC: D3F3000C 1A021188
	v_mfma_f32_16x16x32_fp8_fp8 v[12:15], a[138:139], a[10:11], v[12:15]// 000000004CB4: D3F3000C 1C32158A
	buffer_load_dwordx4 a[124:127], v67, s[84:87], 0 offen offset:1024// 000000004CBC: E05C1400 80957C43
	v_mfma_f32_16x16x32_fp8_fp8 v[12:15], a[140:141], a[12:13], v[12:15]// 000000004CC4: D3F3000C 1C32198C
	v_mfma_f32_16x16x32_fp8_fp8 v[12:15], a[142:143], a[14:15], v[12:15]// 000000004CCC: D3F3000C 1C321D8E
	ds_read_b128 a[72:75], v2 offset:1536                      // 000000004CD4: DBFE0600 48000002
	ds_read_b128 a[76:79], v2 offset:1600                      // 000000004CDC: DBFE0640 4C000002
	v_fma_f32 v120, v8, v6, v120                               // 000000004CE4: D1CB0078 05E20D08
	v_fma_f32 v121, v9, v6, v121                               // 000000004CEC: D1CB0079 05E60D09
	v_fma_f32 v122, v10, v6, v122                              // 000000004CF4: D1CB007A 05EA0D0A
	v_fma_f32 v123, v11, v6, v123                              // 000000004CFC: D1CB007B 05EE0D0B
	v_mul_f32_dpp v4, v29, v50 row_newbcast:0 row_mask:0xf bank_mask:0xf// 000000004D04: 0A0864FA FF01501D
	v_mfma_f32_16x16x32_fp8_fp8 v[8:11], a[128:129], a[16:17], 0// 000000004D0C: D3F30008 1A022180
	v_mfma_f32_16x16x32_fp8_fp8 v[8:11], a[130:131], a[18:19], v[8:11]// 000000004D14: D3F30008 1C222582
	v_mfma_f32_16x16x32_fp8_fp8 v[8:11], a[132:133], a[20:21], v[8:11]// 000000004D1C: D3F30008 1C222984
	v_mfma_f32_16x16x32_fp8_fp8 v[8:11], a[134:135], a[22:23], v[8:11]// 000000004D24: D3F30008 1C222D86
	ds_read_b128 a[80:83], v2 offset:2048                      // 000000004D2C: DBFE0800 50000002
	ds_read_b128 a[84:87], v2 offset:2112                      // 000000004D34: DBFE0840 54000002
	v_fma_f32 v144, v12, v6, v144                              // 000000004D3C: D1CB0090 06420D0C
	v_fma_f32 v145, v13, v6, v145                              // 000000004D44: D1CB0091 06460D0D
	v_fma_f32 v146, v14, v6, v146                              // 000000004D4C: D1CB0092 064A0D0E
	v_fma_f32 v147, v15, v6, v147                              // 000000004D54: D1CB0093 064E0D0F
	v_mfma_f32_16x16x32_fp8_fp8 v[12:15], a[136:137], a[16:17], 0// 000000004D5C: D3F3000C 1A022188
	v_mfma_f32_16x16x32_fp8_fp8 v[12:15], a[138:139], a[18:19], v[12:15]// 000000004D64: D3F3000C 1C32258A
	v_mfma_f32_16x16x32_fp8_fp8 v[12:15], a[140:141], a[20:21], v[12:15]// 000000004D6C: D3F3000C 1C32298C
	v_mfma_f32_16x16x32_fp8_fp8 v[12:15], a[142:143], a[22:23], v[12:15]// 000000004D74: D3F3000C 1C322D8E
	ds_read_b128 a[88:91], v2 offset:2560                      // 000000004D7C: DBFE0A00 58000002
	ds_read_b128 a[92:95], v2 offset:2624                      // 000000004D84: DBFE0A40 5C000002
	v_fma_f32 v124, v8, v4, v124                               // 000000004D8C: D1CB007C 05F20908
	v_fma_f32 v125, v9, v4, v125                               // 000000004D94: D1CB007D 05F60909
	v_fma_f32 v126, v10, v4, v126                              // 000000004D9C: D1CB007E 05FA090A
	v_fma_f32 v127, v11, v4, v127                              // 000000004DA4: D1CB007F 05FE090B
	v_mul_f32_dpp v6, v29, v51 row_newbcast:0 row_mask:0xf bank_mask:0xf// 000000004DAC: 0A0C66FA FF01501D
	v_mfma_f32_16x16x32_fp8_fp8 v[8:11], a[128:129], a[24:25], 0// 000000004DB4: D3F30008 1A023180
	v_mfma_f32_16x16x32_fp8_fp8 v[8:11], a[130:131], a[26:27], v[8:11]// 000000004DBC: D3F30008 1C223582
	v_mfma_f32_16x16x32_fp8_fp8 v[8:11], a[132:133], a[28:29], v[8:11]// 000000004DC4: D3F30008 1C223984
	v_mfma_f32_16x16x32_fp8_fp8 v[8:11], a[134:135], a[30:31], v[8:11]// 000000004DCC: D3F30008 1C223D86
	v_fma_f32 v148, v12, v4, v148                              // 000000004DD4: D1CB0094 0652090C
	v_fma_f32 v149, v13, v4, v149                              // 000000004DDC: D1CB0095 0656090D
	v_fma_f32 v150, v14, v4, v150                              // 000000004DE4: D1CB0096 065A090E
	v_fma_f32 v151, v15, v4, v151                              // 000000004DEC: D1CB0097 065E090F
	v_mfma_f32_16x16x32_fp8_fp8 v[12:15], a[136:137], a[24:25], 0// 000000004DF4: D3F3000C 1A023188
	v_mfma_f32_16x16x32_fp8_fp8 v[12:15], a[138:139], a[26:27], v[12:15]// 000000004DFC: D3F3000C 1C32358A
	v_mfma_f32_16x16x32_fp8_fp8 v[12:15], a[140:141], a[28:29], v[12:15]// 000000004E04: D3F3000C 1C32398C
	v_mfma_f32_16x16x32_fp8_fp8 v[12:15], a[142:143], a[30:31], v[12:15]// 000000004E0C: D3F3000C 1C323D8E
	v_fma_f32 v128, v8, v6, v128                               // 000000004E14: D1CB0080 06020D08
	v_fma_f32 v129, v9, v6, v129                               // 000000004E1C: D1CB0081 06060D09
	v_fma_f32 v130, v10, v6, v130                              // 000000004E24: D1CB0082 060A0D0A
	v_fma_f32 v131, v11, v6, v131                              // 000000004E2C: D1CB0083 060E0D0B
	v_mul_f32_dpp v4, v29, v52 row_newbcast:0 row_mask:0xf bank_mask:0xf// 000000004E34: 0A0868FA FF01501D
	v_mfma_f32_16x16x32_fp8_fp8 v[8:11], a[128:129], a[32:33], 0// 000000004E3C: D3F30008 1A024180
	v_mfma_f32_16x16x32_fp8_fp8 v[8:11], a[130:131], a[34:35], v[8:11]// 000000004E44: D3F30008 1C224582
	v_mfma_f32_16x16x32_fp8_fp8 v[8:11], a[132:133], a[36:37], v[8:11]// 000000004E4C: D3F30008 1C224984
	v_mfma_f32_16x16x32_fp8_fp8 v[8:11], a[134:135], a[38:39], v[8:11]// 000000004E54: D3F30008 1C224D86
	v_fma_f32 v152, v12, v6, v152                              // 000000004E5C: D1CB0098 06620D0C
	v_fma_f32 v153, v13, v6, v153                              // 000000004E64: D1CB0099 06660D0D
	v_fma_f32 v154, v14, v6, v154                              // 000000004E6C: D1CB009A 066A0D0E
	v_fma_f32 v155, v15, v6, v155                              // 000000004E74: D1CB009B 066E0D0F
	v_mfma_f32_16x16x32_fp8_fp8 v[12:15], a[136:137], a[32:33], 0// 000000004E7C: D3F3000C 1A024188
	v_mfma_f32_16x16x32_fp8_fp8 v[12:15], a[138:139], a[34:35], v[12:15]// 000000004E84: D3F3000C 1C32458A
	v_mfma_f32_16x16x32_fp8_fp8 v[12:15], a[140:141], a[36:37], v[12:15]// 000000004E8C: D3F3000C 1C32498C
	v_mfma_f32_16x16x32_fp8_fp8 v[12:15], a[142:143], a[38:39], v[12:15]// 000000004E94: D3F3000C 1C324D8E
	v_fma_f32 v132, v8, v4, v132                               // 000000004E9C: D1CB0084 06120908
	v_fma_f32 v133, v9, v4, v133                               // 000000004EA4: D1CB0085 06160909
	v_fma_f32 v134, v10, v4, v134                              // 000000004EAC: D1CB0086 061A090A
	v_fma_f32 v135, v11, v4, v135                              // 000000004EB4: D1CB0087 061E090B
	v_mul_f32_dpp v6, v29, v53 row_newbcast:0 row_mask:0xf bank_mask:0xf// 000000004EBC: 0A0C6AFA FF01501D
	v_mfma_f32_16x16x32_fp8_fp8 v[8:11], a[128:129], a[40:41], 0// 000000004EC4: D3F30008 1A025180
	s_add_u32 s60, 0x180, s80                                  // 000000004ECC: 803C50FF 00000180
	s_cmp_lt_u32 s60, s81                                      // 000000004ED4: BF0A513C
	s_cselect_b32 s57, s57, 0                                  // 000000004ED8: 85398039
	s_cselect_b32 s3, s3, 0                                    // 000000004EDC: 85038003
	v_mfma_f32_16x16x32_fp8_fp8 v[8:11], a[130:131], a[42:43], v[8:11]// 000000004EE0: D3F30008 1C225582
	s_add_u32 s60, 0x100, s80                                  // 000000004EE8: 803C50FF 00000100
	s_cmp_lt_u32 s60, s81                                      // 000000004EF0: BF0A513C
	s_cselect_b32 s58, s58, 0                                  // 000000004EF4: 853A803A
	v_mfma_f32_16x16x32_fp8_fp8 v[8:11], a[132:133], a[44:45], v[8:11]// 000000004EF8: D3F30008 1C225984
	s_add_u32 s60, 0x100, s80                                  // 000000004F00: 803C50FF 00000100
	s_cmp_lt_u32 s60, s81                                      // 000000004F08: BF0A513C
	s_cselect_b32 s83, s83, 0                                  // 000000004F0C: 85538053
	s_cselect_b32 s4, s4, 0                                    // 000000004F10: 85048004
	v_mfma_f32_16x16x32_fp8_fp8 v[8:11], a[134:135], a[46:47], v[8:11]// 000000004F14: D3F30008 1C225D86
	s_add_u32 s24, s58, s24                                    // 000000004F1C: 8018183A
	s_addc_u32 s25, 0, s25                                     // 000000004F20: 82191980
	v_fma_f32 v156, v12, v4, v156                              // 000000004F24: D1CB009C 0672090C
	v_fma_f32 v157, v13, v4, v157                              // 000000004F2C: D1CB009D 0676090D
	v_fma_f32 v158, v14, v4, v158                              // 000000004F34: D1CB009E 067A090E
	v_fma_f32 v159, v15, v4, v159                              // 000000004F3C: D1CB009F 067E090F
	v_mfma_f32_16x16x32_fp8_fp8 v[12:15], a[136:137], a[40:41], 0// 000000004F44: D3F3000C 1A025188
	s_add_u32 s20, s57, s20                                    // 000000004F4C: 80141439
	s_addc_u32 s21, 0, s21                                     // 000000004F50: 82151580
	s_add_u32 s28, s3, s28                                     // 000000004F54: 801C1C03
	s_addc_u32 s29, 0, s29                                     // 000000004F58: 821D1D80
	v_mfma_f32_16x16x32_fp8_fp8 v[12:15], a[138:139], a[42:43], v[12:15]// 000000004F5C: D3F3000C 1C32558A
	s_add_u32 s84, s83, s84                                    // 000000004F64: 80545453
	s_addc_u32 s85, 0, s85                                     // 000000004F68: 82555580
	v_mfma_f32_16x16x32_fp8_fp8 v[12:15], a[140:141], a[44:45], v[12:15]// 000000004F6C: D3F3000C 1C32598C
	s_add_u32 s32, s4, s32                                     // 000000004F74: 80202004
	s_addc_u32 s33, 0, s33                                     // 000000004F78: 82212180
	v_mfma_f32_16x16x32_fp8_fp8 v[12:15], a[142:143], a[46:47], v[12:15]// 000000004F7C: D3F3000C 1C325D8E
	v_fma_f32 v136, v8, v6, v136                               // 000000004F84: D1CB0088 06220D08
	v_fma_f32 v137, v9, v6, v137                               // 000000004F8C: D1CB0089 06260D09
	v_fma_f32 v138, v10, v6, v138                              // 000000004F94: D1CB008A 062A0D0A
	v_fma_f32 v139, v11, v6, v139                              // 000000004F9C: D1CB008B 062E0D0B
	v_fma_f32 v160, v12, v6, v160                              // 000000004FA4: D1CB00A0 06820D0C
	v_fma_f32 v161, v13, v6, v161                              // 000000004FAC: D1CB00A1 06860D0D
	v_fma_f32 v162, v14, v6, v162                              // 000000004FB4: D1CB00A2 068A0D0E
	v_fma_f32 v163, v15, v6, v163                              // 000000004FBC: D1CB00A3 068E0D0F
	s_addk_i32 s80, 0x80                                       // 000000004FC4: B7500080
	s_cmp_lt_i32 s80, s81                                      // 000000004FC8: BF045150
	s_cbranch_scc0 label_0FCC                                  // 000000004FCC: BF840658
	s_waitcnt vmcnt(23) lgkmcnt(0)                             // 000000004FD0: BF8C4077
	v_mul_f32_dpp v4, v24, v36 row_newbcast:0 row_mask:0xf bank_mask:0xf// 000000004FD4: 0A0848FA FF015018
	v_mfma_f32_16x16x32_fp8_fp8 v[8:11], a[96:97], a[48:49], 0 // 000000004FDC: D3F30008 1A026160
	buffer_load_dword v25, v22, s[32:35], 0 offen              // 000000004FE4: E0501000 80081916
	v_mfma_f32_16x16x32_fp8_fp8 v[8:11], a[98:99], a[50:51], v[8:11]// 000000004FEC: D3F30008 1C226562
	buffer_load_dwordx4 a[128:131], v66, s[24:27], 0 offen     // 000000004FF4: E05C1000 80868042
	v_mfma_f32_16x16x32_fp8_fp8 v[8:11], a[100:101], a[52:53], v[8:11]// 000000004FFC: D3F30008 1C226964
	v_mfma_f32_16x16x32_fp8_fp8 v[8:11], a[102:103], a[54:55], v[8:11]// 000000005004: D3F30008 1C226D66
	v_mfma_f32_16x16x32_fp8_fp8 v[12:15], a[104:105], a[48:49], 0// 00000000500C: D3F3000C 1A026168
	v_mfma_f32_16x16x32_fp8_fp8 v[12:15], a[106:107], a[50:51], v[12:15]// 000000005014: D3F3000C 1C32656A
	buffer_load_dwordx4 a[132:135], v66, s[24:27], 0 offen offset:1024// 00000000501C: E05C1400 80868442
	v_mfma_f32_16x16x32_fp8_fp8 v[12:15], a[108:109], a[52:53], v[12:15]// 000000005024: D3F3000C 1C32696C
	v_mfma_f32_16x16x32_fp8_fp8 v[12:15], a[110:111], a[54:55], v[12:15]// 00000000502C: D3F3000C 1C326D6E
	v_fma_f32 v68, v8, v4, v68                                 // 000000005034: D1CB0044 05120908
	v_fma_f32 v69, v9, v4, v69                                 // 00000000503C: D1CB0045 05160909
	v_fma_f32 v70, v10, v4, v70                                // 000000005044: D1CB0046 051A090A
	v_fma_f32 v71, v11, v4, v71                                // 00000000504C: D1CB0047 051E090B
	v_mul_f32_dpp v6, v24, v37 row_newbcast:0 row_mask:0xf bank_mask:0xf// 000000005054: 0A0C4AFA FF015018
	v_mfma_f32_16x16x32_fp8_fp8 v[8:11], a[96:97], a[56:57], 0 // 00000000505C: D3F30008 1A027160
	v_mfma_f32_16x16x32_fp8_fp8 v[8:11], a[98:99], a[58:59], v[8:11]// 000000005064: D3F30008 1C227562
	buffer_load_dwordx4 a[136:139], v67, s[24:27], 0 offen     // 00000000506C: E05C1000 80868843
	v_mfma_f32_16x16x32_fp8_fp8 v[8:11], a[100:101], a[60:61], v[8:11]// 000000005074: D3F30008 1C227964
	v_mfma_f32_16x16x32_fp8_fp8 v[8:11], a[102:103], a[62:63], v[8:11]// 00000000507C: D3F30008 1C227D66
	v_fma_f32 v92, v12, v4, v92                                // 000000005084: D1CB005C 0572090C
	v_fma_f32 v93, v13, v4, v93                                // 00000000508C: D1CB005D 0576090D
	v_fma_f32 v94, v14, v4, v94                                // 000000005094: D1CB005E 057A090E
	v_fma_f32 v95, v15, v4, v95                                // 00000000509C: D1CB005F 057E090F
	v_mfma_f32_16x16x32_fp8_fp8 v[12:15], a[104:105], a[56:57], 0// 0000000050A4: D3F3000C 1A027168
	v_mfma_f32_16x16x32_fp8_fp8 v[12:15], a[106:107], a[58:59], v[12:15]// 0000000050AC: D3F3000C 1C32756A
	buffer_load_dwordx4 a[140:143], v67, s[24:27], 0 offen offset:1024// 0000000050B4: E05C1400 80868C43
	buffer_load_dword v54, s[20:23], 0 offen lds               // 0000000050BC: E0511000 80050036
	s_add_u32 m0, 0x100, s50                                   // 0000000050C4: 807C32FF 00000100
	v_mfma_f32_16x16x32_fp8_fp8 v[12:15], a[108:109], a[60:61], v[12:15]// 0000000050CC: D3F3000C 1C32796C
	v_mfma_f32_16x16x32_fp8_fp8 v[12:15], a[110:111], a[62:63], v[12:15]// 0000000050D4: D3F3000C 1C327D6E
	buffer_load_dword v55, s[20:23], 0 offen lds               // 0000000050DC: E0511000 80050037
	s_add_u32 m0, 0x200, s50                                   // 0000000050E4: 807C32FF 00000200
	v_fma_f32 v72, v8, v6, v72                                 // 0000000050EC: D1CB0048 05220D08
	v_fma_f32 v73, v9, v6, v73                                 // 0000000050F4: D1CB0049 05260D09
	v_fma_f32 v74, v10, v6, v74                                // 0000000050FC: D1CB004A 052A0D0A
	v_fma_f32 v75, v11, v6, v75                                // 000000005104: D1CB004B 052E0D0B
	v_mul_f32_dpp v4, v24, v38 row_newbcast:0 row_mask:0xf bank_mask:0xf// 00000000510C: 0A084CFA FF015018
	v_mfma_f32_16x16x32_fp8_fp8 v[8:11], a[96:97], a[64:65], 0 // 000000005114: D3F30008 1A028160
	v_mfma_f32_16x16x32_fp8_fp8 v[8:11], a[98:99], a[66:67], v[8:11]// 00000000511C: D3F30008 1C228562
	buffer_load_dword v56, s[20:23], 0 offen lds               // 000000005124: E0511000 80050038
	s_add_u32 m0, 0x300, s50                                   // 00000000512C: 807C32FF 00000300
	v_mfma_f32_16x16x32_fp8_fp8 v[8:11], a[100:101], a[68:69], v[8:11]// 000000005134: D3F30008 1C228964
	v_mfma_f32_16x16x32_fp8_fp8 v[8:11], a[102:103], a[70:71], v[8:11]// 00000000513C: D3F30008 1C228D66
	buffer_load_dword v57, s[20:23], 0 offen lds               // 000000005144: E0511000 80050039
	s_add_u32 m0, 0x400, s50                                   // 00000000514C: 807C32FF 00000400
	v_fma_f32 v96, v12, v6, v96                                // 000000005154: D1CB0060 05820D0C
	v_fma_f32 v97, v13, v6, v97                                // 00000000515C: D1CB0061 05860D0D
	v_fma_f32 v98, v14, v6, v98                                // 000000005164: D1CB0062 058A0D0E
	v_fma_f32 v99, v15, v6, v99                                // 00000000516C: D1CB0063 058E0D0F
	v_mfma_f32_16x16x32_fp8_fp8 v[12:15], a[104:105], a[64:65], 0// 000000005174: D3F3000C 1A028168
	v_mfma_f32_16x16x32_fp8_fp8 v[12:15], a[106:107], a[66:67], v[12:15]// 00000000517C: D3F3000C 1C32856A
	buffer_load_dword v58, s[20:23], 0 offen lds               // 000000005184: E0511000 8005003A
	s_add_u32 m0, 0x500, s50                                   // 00000000518C: 807C32FF 00000500
	v_mfma_f32_16x16x32_fp8_fp8 v[12:15], a[108:109], a[68:69], v[12:15]// 000000005194: D3F3000C 1C32896C
	v_mfma_f32_16x16x32_fp8_fp8 v[12:15], a[110:111], a[70:71], v[12:15]// 00000000519C: D3F3000C 1C328D6E
	buffer_load_dword v59, s[20:23], 0 offen lds               // 0000000051A4: E0511000 8005003B
	s_add_u32 m0, 0x600, s50                                   // 0000000051AC: 807C32FF 00000600
	v_fma_f32 v76, v8, v4, v76                                 // 0000000051B4: D1CB004C 05320908
	v_fma_f32 v77, v9, v4, v77                                 // 0000000051BC: D1CB004D 05360909
	v_fma_f32 v78, v10, v4, v78                                // 0000000051C4: D1CB004E 053A090A
	v_fma_f32 v79, v11, v4, v79                                // 0000000051CC: D1CB004F 053E090B
	v_mul_f32_dpp v6, v24, v39 row_newbcast:0 row_mask:0xf bank_mask:0xf// 0000000051D4: 0A0C4EFA FF015018
	v_mfma_f32_16x16x32_fp8_fp8 v[8:11], a[96:97], a[72:73], 0 // 0000000051DC: D3F30008 1A029160
	v_mfma_f32_16x16x32_fp8_fp8 v[8:11], a[98:99], a[74:75], v[8:11]// 0000000051E4: D3F30008 1C229562
	buffer_load_dword v60, s[20:23], 0 offen lds               // 0000000051EC: E0511000 8005003C
	s_add_u32 m0, 0x700, s50                                   // 0000000051F4: 807C32FF 00000700
	v_mfma_f32_16x16x32_fp8_fp8 v[8:11], a[100:101], a[76:77], v[8:11]// 0000000051FC: D3F30008 1C229964
	v_mfma_f32_16x16x32_fp8_fp8 v[8:11], a[102:103], a[78:79], v[8:11]// 000000005204: D3F30008 1C229D66
	buffer_load_dword v61, s[20:23], 0 offen lds               // 00000000520C: E0511000 8005003D
	s_add_u32 m0, 0x800, s50                                   // 000000005214: 807C32FF 00000800
	v_fma_f32 v100, v12, v4, v100                              // 00000000521C: D1CB0064 0592090C
	v_fma_f32 v101, v13, v4, v101                              // 000000005224: D1CB0065 0596090D
	v_fma_f32 v102, v14, v4, v102                              // 00000000522C: D1CB0066 059A090E
	v_fma_f32 v103, v15, v4, v103                              // 000000005234: D1CB0067 059E090F
	v_mfma_f32_16x16x32_fp8_fp8 v[12:15], a[104:105], a[72:73], 0// 00000000523C: D3F3000C 1A029168
	v_mfma_f32_16x16x32_fp8_fp8 v[12:15], a[106:107], a[74:75], v[12:15]// 000000005244: D3F3000C 1C32956A
	buffer_load_dword v62, s[20:23], 0 offen lds               // 00000000524C: E0511000 8005003E
	s_add_u32 m0, 0x900, s50                                   // 000000005254: 807C32FF 00000900
	v_mfma_f32_16x16x32_fp8_fp8 v[12:15], a[108:109], a[76:77], v[12:15]// 00000000525C: D3F3000C 1C32996C
	v_mfma_f32_16x16x32_fp8_fp8 v[12:15], a[110:111], a[78:79], v[12:15]// 000000005264: D3F3000C 1C329D6E
	buffer_load_dword v63, s[20:23], 0 offen lds               // 00000000526C: E0511000 8005003F
	s_add_u32 m0, 0xa00, s50                                   // 000000005274: 807C32FF 00000A00
	v_fma_f32 v80, v8, v6, v80                                 // 00000000527C: D1CB0050 05420D08
	v_fma_f32 v81, v9, v6, v81                                 // 000000005284: D1CB0051 05460D09
	v_fma_f32 v82, v10, v6, v82                                // 00000000528C: D1CB0052 054A0D0A
	v_fma_f32 v83, v11, v6, v83                                // 000000005294: D1CB0053 054E0D0B
	v_mul_f32_dpp v4, v24, v40 row_newbcast:0 row_mask:0xf bank_mask:0xf// 00000000529C: 0A0850FA FF015018
	v_mfma_f32_16x16x32_fp8_fp8 v[8:11], a[96:97], a[80:81], 0 // 0000000052A4: D3F30008 1A02A160
	v_mfma_f32_16x16x32_fp8_fp8 v[8:11], a[98:99], a[82:83], v[8:11]// 0000000052AC: D3F30008 1C22A562
	buffer_load_dword v64, s[20:23], 0 offen lds               // 0000000052B4: E0511000 80050040
	s_add_u32 m0, 0xb00, s50                                   // 0000000052BC: 807C32FF 00000B00
	v_mfma_f32_16x16x32_fp8_fp8 v[8:11], a[100:101], a[84:85], v[8:11]// 0000000052C4: D3F30008 1C22A964
	v_mfma_f32_16x16x32_fp8_fp8 v[8:11], a[102:103], a[86:87], v[8:11]// 0000000052CC: D3F30008 1C22AD66
	buffer_load_dword v65, s[20:23], 0 offen lds               // 0000000052D4: E0511000 80050041
	s_add_u32 m0, 0, s48                                       // 0000000052DC: 807C3080
	v_fma_f32 v104, v12, v6, v104                              // 0000000052E0: D1CB0068 05A20D0C
	v_fma_f32 v105, v13, v6, v105                              // 0000000052E8: D1CB0069 05A60D0D
	v_fma_f32 v106, v14, v6, v106                              // 0000000052F0: D1CB006A 05AA0D0E
	v_fma_f32 v107, v15, v6, v107                              // 0000000052F8: D1CB006B 05AE0D0F
	v_mfma_f32_16x16x32_fp8_fp8 v[12:15], a[104:105], a[80:81], 0// 000000005300: D3F3000C 1A02A168
	v_mfma_f32_16x16x32_fp8_fp8 v[12:15], a[106:107], a[82:83], v[12:15]// 000000005308: D3F3000C 1C32A56A
	buffer_load_dword v48, v30, s[28:31], 0 offen              // 000000005310: E0501000 8007301E
	v_mfma_f32_16x16x32_fp8_fp8 v[12:15], a[108:109], a[84:85], v[12:15]// 000000005318: D3F3000C 1C32A96C
	v_mfma_f32_16x16x32_fp8_fp8 v[12:15], a[110:111], a[86:87], v[12:15]// 000000005320: D3F3000C 1C32AD6E
	buffer_load_dword v49, v31, s[28:31], 0 offen              // 000000005328: E0501000 8007311F
	v_fma_f32 v84, v8, v4, v84                                 // 000000005330: D1CB0054 05520908
	v_fma_f32 v85, v9, v4, v85                                 // 000000005338: D1CB0055 05560909
	v_fma_f32 v86, v10, v4, v86                                // 000000005340: D1CB0056 055A090A
	v_fma_f32 v87, v11, v4, v87                                // 000000005348: D1CB0057 055E090B
	v_mul_f32_dpp v6, v24, v41 row_newbcast:0 row_mask:0xf bank_mask:0xf// 000000005350: 0A0C52FA FF015018
	v_mfma_f32_16x16x32_fp8_fp8 v[8:11], a[96:97], a[88:89], 0 // 000000005358: D3F30008 1A02B160
	v_mfma_f32_16x16x32_fp8_fp8 v[8:11], a[98:99], a[90:91], v[8:11]// 000000005360: D3F30008 1C22B562
	buffer_load_dword v50, v32, s[28:31], 0 offen              // 000000005368: E0501000 80073220
	v_mfma_f32_16x16x32_fp8_fp8 v[8:11], a[100:101], a[92:93], v[8:11]// 000000005370: D3F30008 1C22B964
	v_mfma_f32_16x16x32_fp8_fp8 v[8:11], a[102:103], a[94:95], v[8:11]// 000000005378: D3F30008 1C22BD66
	buffer_load_dword v51, v33, s[28:31], 0 offen              // 000000005380: E0501000 80073321
	v_fma_f32 v108, v12, v4, v108                              // 000000005388: D1CB006C 05B2090C
	v_fma_f32 v109, v13, v4, v109                              // 000000005390: D1CB006D 05B6090D
	v_fma_f32 v110, v14, v4, v110                              // 000000005398: D1CB006E 05BA090E
	v_fma_f32 v111, v15, v4, v111                              // 0000000053A0: D1CB006F 05BE090F
	v_mfma_f32_16x16x32_fp8_fp8 v[12:15], a[104:105], a[88:89], 0// 0000000053A8: D3F3000C 1A02B168
	v_mfma_f32_16x16x32_fp8_fp8 v[12:15], a[106:107], a[90:91], v[12:15]// 0000000053B0: D3F3000C 1C32B56A
	buffer_load_dword v52, v34, s[28:31], 0 offen              // 0000000053B8: E0501000 80073422
	v_mfma_f32_16x16x32_fp8_fp8 v[12:15], a[108:109], a[92:93], v[12:15]// 0000000053C0: D3F3000C 1C32B96C
	v_mfma_f32_16x16x32_fp8_fp8 v[12:15], a[110:111], a[94:95], v[12:15]// 0000000053C8: D3F3000C 1C32BD6E
	buffer_load_dword v53, v35, s[28:31], 0 offen              // 0000000053D0: E0501000 80073523
	v_fma_f32 v88, v8, v6, v88                                 // 0000000053D8: D1CB0058 05620D08
	v_fma_f32 v89, v9, v6, v89                                 // 0000000053E0: D1CB0059 05660D09
	v_fma_f32 v90, v10, v6, v90                                // 0000000053E8: D1CB005A 056A0D0A
	v_fma_f32 v91, v11, v6, v91                                // 0000000053F0: D1CB005B 056E0D0B
	v_fma_f32 v112, v12, v6, v112                              // 0000000053F8: D1CB0070 05C20D0C
	v_fma_f32 v113, v13, v6, v113                              // 000000005400: D1CB0071 05C60D0D
	v_fma_f32 v114, v14, v6, v114                              // 000000005408: D1CB0072 05CA0D0E
	v_fma_f32 v115, v15, v6, v115                              // 000000005410: D1CB0073 05CE0D0F
	s_waitcnt vmcnt(23)                                        // 000000005418: BF8C4F77
	s_barrier                                                  // 00000000541C: BF8A0000
	v_mul_f32_dpp v4, v27, v36 row_newbcast:0 row_mask:0xf bank_mask:0xf// 000000005420: 0A0848FA FF01501B
	v_mfma_f32_16x16x32_fp8_fp8 v[8:11], a[112:113], a[48:49], 0// 000000005428: D3F30008 1A026170
	buffer_load_dword v28, v23, s[32:35], 0 offen              // 000000005430: E0501000 80081C17
	v_mfma_f32_16x16x32_fp8_fp8 v[8:11], a[114:115], a[50:51], v[8:11]// 000000005438: D3F30008 1C226572
	buffer_load_dwordx4 a[96:99], v66, s[84:87], 0 offen       // 000000005440: E05C1000 80956042
	v_mfma_f32_16x16x32_fp8_fp8 v[8:11], a[116:117], a[52:53], v[8:11]// 000000005448: D3F30008 1C226974
	v_mfma_f32_16x16x32_fp8_fp8 v[8:11], a[118:119], a[54:55], v[8:11]// 000000005450: D3F30008 1C226D76
	ds_read_b128 a[0:3], v2 offset:12416                       // 000000005458: DBFE3080 00000002
	ds_read_b128 a[4:7], v2 offset:12480                       // 000000005460: DBFE30C0 04000002
	v_mfma_f32_16x16x32_fp8_fp8 v[12:15], a[120:121], a[48:49], 0// 000000005468: D3F3000C 1A026178
	v_mfma_f32_16x16x32_fp8_fp8 v[12:15], a[122:123], a[50:51], v[12:15]// 000000005470: D3F3000C 1C32657A
	buffer_load_dwordx4 a[100:103], v66, s[84:87], 0 offen offset:1024// 000000005478: E05C1400 80956442
	v_mfma_f32_16x16x32_fp8_fp8 v[12:15], a[124:125], a[52:53], v[12:15]// 000000005480: D3F3000C 1C32697C
	v_mfma_f32_16x16x32_fp8_fp8 v[12:15], a[126:127], a[54:55], v[12:15]// 000000005488: D3F3000C 1C326D7E
	ds_read_b128 a[8:11], v2 offset:12928                      // 000000005490: DBFE3280 08000002
	ds_read_b128 a[12:15], v2 offset:12992                     // 000000005498: DBFE32C0 0C000002
	v_fma_f32 v116, v8, v4, v116                               // 0000000054A0: D1CB0074 05D20908
	v_fma_f32 v117, v9, v4, v117                               // 0000000054A8: D1CB0075 05D60909
	v_fma_f32 v118, v10, v4, v118                              // 0000000054B0: D1CB0076 05DA090A
	v_fma_f32 v119, v11, v4, v119                              // 0000000054B8: D1CB0077 05DE090B
	v_mul_f32_dpp v6, v27, v37 row_newbcast:0 row_mask:0xf bank_mask:0xf// 0000000054C0: 0A0C4AFA FF01501B
	v_mfma_f32_16x16x32_fp8_fp8 v[8:11], a[112:113], a[56:57], 0// 0000000054C8: D3F30008 1A027170
	v_mfma_f32_16x16x32_fp8_fp8 v[8:11], a[114:115], a[58:59], v[8:11]// 0000000054D0: D3F30008 1C227572
	buffer_load_dwordx4 a[104:107], v67, s[84:87], 0 offen     // 0000000054D8: E05C1000 80956843
	v_mfma_f32_16x16x32_fp8_fp8 v[8:11], a[116:117], a[60:61], v[8:11]// 0000000054E0: D3F30008 1C227974
	v_mfma_f32_16x16x32_fp8_fp8 v[8:11], a[118:119], a[62:63], v[8:11]// 0000000054E8: D3F30008 1C227D76
	ds_read_b128 a[16:19], v2 offset:13440                     // 0000000054F0: DBFE3480 10000002
	ds_read_b128 a[20:23], v2 offset:13504                     // 0000000054F8: DBFE34C0 14000002
	v_fma_f32 v140, v12, v4, v140                              // 000000005500: D1CB008C 0632090C
	v_fma_f32 v141, v13, v4, v141                              // 000000005508: D1CB008D 0636090D
	v_fma_f32 v142, v14, v4, v142                              // 000000005510: D1CB008E 063A090E
	v_fma_f32 v143, v15, v4, v143                              // 000000005518: D1CB008F 063E090F
	v_mfma_f32_16x16x32_fp8_fp8 v[12:15], a[120:121], a[56:57], 0// 000000005520: D3F3000C 1A027178
	v_mfma_f32_16x16x32_fp8_fp8 v[12:15], a[122:123], a[58:59], v[12:15]// 000000005528: D3F3000C 1C32757A
	buffer_load_dwordx4 a[108:111], v67, s[84:87], 0 offen offset:1024// 000000005530: E05C1400 80956C43
	v_mfma_f32_16x16x32_fp8_fp8 v[12:15], a[124:125], a[60:61], v[12:15]// 000000005538: D3F3000C 1C32797C
	v_mfma_f32_16x16x32_fp8_fp8 v[12:15], a[126:127], a[62:63], v[12:15]// 000000005540: D3F3000C 1C327D7E
	ds_read_b128 a[24:27], v2 offset:13952                     // 000000005548: DBFE3680 18000002
	ds_read_b128 a[28:31], v2 offset:14016                     // 000000005550: DBFE36C0 1C000002
	v_fma_f32 v120, v8, v6, v120                               // 000000005558: D1CB0078 05E20D08
	v_fma_f32 v121, v9, v6, v121                               // 000000005560: D1CB0079 05E60D09
	v_fma_f32 v122, v10, v6, v122                              // 000000005568: D1CB007A 05EA0D0A
	v_fma_f32 v123, v11, v6, v123                              // 000000005570: D1CB007B 05EE0D0B
	v_mul_f32_dpp v4, v27, v38 row_newbcast:0 row_mask:0xf bank_mask:0xf// 000000005578: 0A084CFA FF01501B
	v_mfma_f32_16x16x32_fp8_fp8 v[8:11], a[112:113], a[64:65], 0// 000000005580: D3F30008 1A028170
	v_mfma_f32_16x16x32_fp8_fp8 v[8:11], a[114:115], a[66:67], v[8:11]// 000000005588: D3F30008 1C228572
	v_mfma_f32_16x16x32_fp8_fp8 v[8:11], a[116:117], a[68:69], v[8:11]// 000000005590: D3F30008 1C228974
	v_mfma_f32_16x16x32_fp8_fp8 v[8:11], a[118:119], a[70:71], v[8:11]// 000000005598: D3F30008 1C228D76
	ds_read_b128 a[32:35], v2 offset:14464                     // 0000000055A0: DBFE3880 20000002
	ds_read_b128 a[36:39], v2 offset:14528                     // 0000000055A8: DBFE38C0 24000002
	v_fma_f32 v144, v12, v6, v144                              // 0000000055B0: D1CB0090 06420D0C
	v_fma_f32 v145, v13, v6, v145                              // 0000000055B8: D1CB0091 06460D0D
	v_fma_f32 v146, v14, v6, v146                              // 0000000055C0: D1CB0092 064A0D0E
	v_fma_f32 v147, v15, v6, v147                              // 0000000055C8: D1CB0093 064E0D0F
	v_mfma_f32_16x16x32_fp8_fp8 v[12:15], a[120:121], a[64:65], 0// 0000000055D0: D3F3000C 1A028178
	v_mfma_f32_16x16x32_fp8_fp8 v[12:15], a[122:123], a[66:67], v[12:15]// 0000000055D8: D3F3000C 1C32857A
	v_mfma_f32_16x16x32_fp8_fp8 v[12:15], a[124:125], a[68:69], v[12:15]// 0000000055E0: D3F3000C 1C32897C
	v_mfma_f32_16x16x32_fp8_fp8 v[12:15], a[126:127], a[70:71], v[12:15]// 0000000055E8: D3F3000C 1C328D7E
	ds_read_b128 a[40:43], v2 offset:14976                     // 0000000055F0: DBFE3A80 28000002
	ds_read_b128 a[44:47], v2 offset:15040                     // 0000000055F8: DBFE3AC0 2C000002
	v_fma_f32 v124, v8, v4, v124                               // 000000005600: D1CB007C 05F20908
	v_fma_f32 v125, v9, v4, v125                               // 000000005608: D1CB007D 05F60909
	v_fma_f32 v126, v10, v4, v126                              // 000000005610: D1CB007E 05FA090A
	v_fma_f32 v127, v11, v4, v127                              // 000000005618: D1CB007F 05FE090B
	v_mul_f32_dpp v6, v27, v39 row_newbcast:0 row_mask:0xf bank_mask:0xf// 000000005620: 0A0C4EFA FF01501B
	v_mfma_f32_16x16x32_fp8_fp8 v[8:11], a[112:113], a[72:73], 0// 000000005628: D3F30008 1A029170
	v_mfma_f32_16x16x32_fp8_fp8 v[8:11], a[114:115], a[74:75], v[8:11]// 000000005630: D3F30008 1C229572
	v_mfma_f32_16x16x32_fp8_fp8 v[8:11], a[116:117], a[76:77], v[8:11]// 000000005638: D3F30008 1C229974
	v_mfma_f32_16x16x32_fp8_fp8 v[8:11], a[118:119], a[78:79], v[8:11]// 000000005640: D3F30008 1C229D76
	v_fma_f32 v148, v12, v4, v148                              // 000000005648: D1CB0094 0652090C
	v_fma_f32 v149, v13, v4, v149                              // 000000005650: D1CB0095 0656090D
	v_fma_f32 v150, v14, v4, v150                              // 000000005658: D1CB0096 065A090E
	v_fma_f32 v151, v15, v4, v151                              // 000000005660: D1CB0097 065E090F
	v_mfma_f32_16x16x32_fp8_fp8 v[12:15], a[120:121], a[72:73], 0// 000000005668: D3F3000C 1A029178
	v_mfma_f32_16x16x32_fp8_fp8 v[12:15], a[122:123], a[74:75], v[12:15]// 000000005670: D3F3000C 1C32957A
	v_mfma_f32_16x16x32_fp8_fp8 v[12:15], a[124:125], a[76:77], v[12:15]// 000000005678: D3F3000C 1C32997C
	v_mfma_f32_16x16x32_fp8_fp8 v[12:15], a[126:127], a[78:79], v[12:15]// 000000005680: D3F3000C 1C329D7E
	v_fma_f32 v128, v8, v6, v128                               // 000000005688: D1CB0080 06020D08
	v_fma_f32 v129, v9, v6, v129                               // 000000005690: D1CB0081 06060D09
	v_fma_f32 v130, v10, v6, v130                              // 000000005698: D1CB0082 060A0D0A
	v_fma_f32 v131, v11, v6, v131                              // 0000000056A0: D1CB0083 060E0D0B
	v_mul_f32_dpp v4, v27, v40 row_newbcast:0 row_mask:0xf bank_mask:0xf// 0000000056A8: 0A0850FA FF01501B
	v_mfma_f32_16x16x32_fp8_fp8 v[8:11], a[112:113], a[80:81], 0// 0000000056B0: D3F30008 1A02A170
	v_mfma_f32_16x16x32_fp8_fp8 v[8:11], a[114:115], a[82:83], v[8:11]// 0000000056B8: D3F30008 1C22A572
	v_mfma_f32_16x16x32_fp8_fp8 v[8:11], a[116:117], a[84:85], v[8:11]// 0000000056C0: D3F30008 1C22A974
	v_mfma_f32_16x16x32_fp8_fp8 v[8:11], a[118:119], a[86:87], v[8:11]// 0000000056C8: D3F30008 1C22AD76
	v_fma_f32 v152, v12, v6, v152                              // 0000000056D0: D1CB0098 06620D0C
	v_fma_f32 v153, v13, v6, v153                              // 0000000056D8: D1CB0099 06660D0D
	v_fma_f32 v154, v14, v6, v154                              // 0000000056E0: D1CB009A 066A0D0E
	v_fma_f32 v155, v15, v6, v155                              // 0000000056E8: D1CB009B 066E0D0F
	v_mfma_f32_16x16x32_fp8_fp8 v[12:15], a[120:121], a[80:81], 0// 0000000056F0: D3F3000C 1A02A178
	v_mfma_f32_16x16x32_fp8_fp8 v[12:15], a[122:123], a[82:83], v[12:15]// 0000000056F8: D3F3000C 1C32A57A
	v_mfma_f32_16x16x32_fp8_fp8 v[12:15], a[124:125], a[84:85], v[12:15]// 000000005700: D3F3000C 1C32A97C
	v_mfma_f32_16x16x32_fp8_fp8 v[12:15], a[126:127], a[86:87], v[12:15]// 000000005708: D3F3000C 1C32AD7E
	v_fma_f32 v132, v8, v4, v132                               // 000000005710: D1CB0084 06120908
	v_fma_f32 v133, v9, v4, v133                               // 000000005718: D1CB0085 06160909
	v_fma_f32 v134, v10, v4, v134                              // 000000005720: D1CB0086 061A090A
	v_fma_f32 v135, v11, v4, v135                              // 000000005728: D1CB0087 061E090B
	v_mul_f32_dpp v6, v27, v41 row_newbcast:0 row_mask:0xf bank_mask:0xf// 000000005730: 0A0C52FA FF01501B
	v_mfma_f32_16x16x32_fp8_fp8 v[8:11], a[112:113], a[88:89], 0// 000000005738: D3F30008 1A02B170
	s_add_u32 s60, 0x180, s80                                  // 000000005740: 803C50FF 00000180
	s_cmp_lt_u32 s60, s81                                      // 000000005748: BF0A513C
	s_cselect_b32 s57, s57, 0                                  // 00000000574C: 85398039
	s_cselect_b32 s3, s3, 0                                    // 000000005750: 85038003
	v_mfma_f32_16x16x32_fp8_fp8 v[8:11], a[114:115], a[90:91], v[8:11]// 000000005754: D3F30008 1C22B572
	s_add_u32 s60, 0x100, s80                                  // 00000000575C: 803C50FF 00000100
	s_cmp_lt_u32 s60, s81                                      // 000000005764: BF0A513C
	s_cselect_b32 s58, s58, 0                                  // 000000005768: 853A803A
	v_mfma_f32_16x16x32_fp8_fp8 v[8:11], a[116:117], a[92:93], v[8:11]// 00000000576C: D3F30008 1C22B974
	s_add_u32 s60, 0x100, s80                                  // 000000005774: 803C50FF 00000100
	s_cmp_lt_u32 s60, s81                                      // 00000000577C: BF0A513C
	s_cselect_b32 s83, s83, 0                                  // 000000005780: 85538053
	s_cselect_b32 s4, s4, 0                                    // 000000005784: 85048004
	v_mfma_f32_16x16x32_fp8_fp8 v[8:11], a[118:119], a[94:95], v[8:11]// 000000005788: D3F30008 1C22BD76
	s_add_u32 s24, s58, s24                                    // 000000005790: 8018183A
	s_addc_u32 s25, 0, s25                                     // 000000005794: 82191980
	v_fma_f32 v156, v12, v4, v156                              // 000000005798: D1CB009C 0672090C
	v_fma_f32 v157, v13, v4, v157                              // 0000000057A0: D1CB009D 0676090D
	v_fma_f32 v158, v14, v4, v158                              // 0000000057A8: D1CB009E 067A090E
	v_fma_f32 v159, v15, v4, v159                              // 0000000057B0: D1CB009F 067E090F
	v_mfma_f32_16x16x32_fp8_fp8 v[12:15], a[120:121], a[88:89], 0// 0000000057B8: D3F3000C 1A02B178
	s_add_u32 s20, s57, s20                                    // 0000000057C0: 80141439
	s_addc_u32 s21, 0, s21                                     // 0000000057C4: 82151580
	s_add_u32 s28, s3, s28                                     // 0000000057C8: 801C1C03
	s_addc_u32 s29, 0, s29                                     // 0000000057CC: 821D1D80
	v_mfma_f32_16x16x32_fp8_fp8 v[12:15], a[122:123], a[90:91], v[12:15]// 0000000057D0: D3F3000C 1C32B57A
	s_add_u32 s84, s83, s84                                    // 0000000057D8: 80545453
	s_addc_u32 s85, 0, s85                                     // 0000000057DC: 82555580
	v_mfma_f32_16x16x32_fp8_fp8 v[12:15], a[124:125], a[92:93], v[12:15]// 0000000057E0: D3F3000C 1C32B97C
	s_add_u32 s32, s4, s32                                     // 0000000057E8: 80202004
	s_addc_u32 s33, 0, s33                                     // 0000000057EC: 82212180
	v_mfma_f32_16x16x32_fp8_fp8 v[12:15], a[126:127], a[94:95], v[12:15]// 0000000057F0: D3F3000C 1C32BD7E
	v_fma_f32 v136, v8, v6, v136                               // 0000000057F8: D1CB0088 06220D08
	v_fma_f32 v137, v9, v6, v137                               // 000000005800: D1CB0089 06260D09
	v_fma_f32 v138, v10, v6, v138                              // 000000005808: D1CB008A 062A0D0A
	v_fma_f32 v139, v11, v6, v139                              // 000000005810: D1CB008B 062E0D0B
	v_fma_f32 v160, v12, v6, v160                              // 000000005818: D1CB00A0 06820D0C
	v_fma_f32 v161, v13, v6, v161                              // 000000005820: D1CB00A1 06860D0D
	v_fma_f32 v162, v14, v6, v162                              // 000000005828: D1CB00A2 068A0D0E
	v_fma_f32 v163, v15, v6, v163                              // 000000005830: D1CB00A3 068E0D0F
	s_addk_i32 s80, 0x80                                       // 000000005838: B7500080
	s_cmp_lt_i32 s80, s81                                      // 00000000583C: BF045150
	s_cbranch_scc0 label_0FCC                                  // 000000005840: BF84043B
	s_waitcnt vmcnt(23) lgkmcnt(0)                             // 000000005844: BF8C4077
	v_mul_f32_dpp v4, v25, v42 row_newbcast:0 row_mask:0xf bank_mask:0xf// 000000005848: 0A0854FA FF015019
	v_mfma_f32_16x16x32_fp8_fp8 v[8:11], a[128:129], a[0:1], 0 // 000000005850: D3F30008 1A020180
	buffer_load_dword v26, v22, s[32:35], 0 offen              // 000000005858: E0501000 80081A16
	v_mfma_f32_16x16x32_fp8_fp8 v[8:11], a[130:131], a[2:3], v[8:11]// 000000005860: D3F30008 1C220582
	buffer_load_dwordx4 a[112:115], v66, s[24:27], 0 offen     // 000000005868: E05C1000 80867042
	v_mfma_f32_16x16x32_fp8_fp8 v[8:11], a[132:133], a[4:5], v[8:11]// 000000005870: D3F30008 1C220984
	v_mfma_f32_16x16x32_fp8_fp8 v[8:11], a[134:135], a[6:7], v[8:11]// 000000005878: D3F30008 1C220D86
	v_mfma_f32_16x16x32_fp8_fp8 v[12:15], a[136:137], a[0:1], 0// 000000005880: D3F3000C 1A020188
	v_mfma_f32_16x16x32_fp8_fp8 v[12:15], a[138:139], a[2:3], v[12:15]// 000000005888: D3F3000C 1C32058A
	buffer_load_dwordx4 a[116:119], v66, s[24:27], 0 offen offset:1024// 000000005890: E05C1400 80867442
	v_mfma_f32_16x16x32_fp8_fp8 v[12:15], a[140:141], a[4:5], v[12:15]// 000000005898: D3F3000C 1C32098C
	v_mfma_f32_16x16x32_fp8_fp8 v[12:15], a[142:143], a[6:7], v[12:15]// 0000000058A0: D3F3000C 1C320D8E
	v_fma_f32 v68, v8, v4, v68                                 // 0000000058A8: D1CB0044 05120908
	v_fma_f32 v69, v9, v4, v69                                 // 0000000058B0: D1CB0045 05160909
	v_fma_f32 v70, v10, v4, v70                                // 0000000058B8: D1CB0046 051A090A
	v_fma_f32 v71, v11, v4, v71                                // 0000000058C0: D1CB0047 051E090B
	v_mul_f32_dpp v6, v25, v43 row_newbcast:0 row_mask:0xf bank_mask:0xf// 0000000058C8: 0A0C56FA FF015019
	v_mfma_f32_16x16x32_fp8_fp8 v[8:11], a[128:129], a[8:9], 0 // 0000000058D0: D3F30008 1A021180
	v_mfma_f32_16x16x32_fp8_fp8 v[8:11], a[130:131], a[10:11], v[8:11]// 0000000058D8: D3F30008 1C221582
	buffer_load_dwordx4 a[120:123], v67, s[24:27], 0 offen     // 0000000058E0: E05C1000 80867843
	v_mfma_f32_16x16x32_fp8_fp8 v[8:11], a[132:133], a[12:13], v[8:11]// 0000000058E8: D3F30008 1C221984
	v_mfma_f32_16x16x32_fp8_fp8 v[8:11], a[134:135], a[14:15], v[8:11]// 0000000058F0: D3F30008 1C221D86
	v_fma_f32 v92, v12, v4, v92                                // 0000000058F8: D1CB005C 0572090C
	v_fma_f32 v93, v13, v4, v93                                // 000000005900: D1CB005D 0576090D
	v_fma_f32 v94, v14, v4, v94                                // 000000005908: D1CB005E 057A090E
	v_fma_f32 v95, v15, v4, v95                                // 000000005910: D1CB005F 057E090F
	v_mfma_f32_16x16x32_fp8_fp8 v[12:15], a[136:137], a[8:9], 0// 000000005918: D3F3000C 1A021188
	v_mfma_f32_16x16x32_fp8_fp8 v[12:15], a[138:139], a[10:11], v[12:15]// 000000005920: D3F3000C 1C32158A
	buffer_load_dwordx4 a[124:127], v67, s[24:27], 0 offen offset:1024// 000000005928: E05C1400 80867C43
	buffer_load_dword v54, s[20:23], 0 offen lds               // 000000005930: E0511000 80050036
	s_add_u32 m0, 0x100, s48                                   // 000000005938: 807C30FF 00000100
	v_mfma_f32_16x16x32_fp8_fp8 v[12:15], a[140:141], a[12:13], v[12:15]// 000000005940: D3F3000C 1C32198C
	v_mfma_f32_16x16x32_fp8_fp8 v[12:15], a[142:143], a[14:15], v[12:15]// 000000005948: D3F3000C 1C321D8E
	buffer_load_dword v55, s[20:23], 0 offen lds               // 000000005950: E0511000 80050037
	s_add_u32 m0, 0x200, s48                                   // 000000005958: 807C30FF 00000200
	v_fma_f32 v72, v8, v6, v72                                 // 000000005960: D1CB0048 05220D08
	v_fma_f32 v73, v9, v6, v73                                 // 000000005968: D1CB0049 05260D09
	v_fma_f32 v74, v10, v6, v74                                // 000000005970: D1CB004A 052A0D0A
	v_fma_f32 v75, v11, v6, v75                                // 000000005978: D1CB004B 052E0D0B
	v_mul_f32_dpp v4, v25, v44 row_newbcast:0 row_mask:0xf bank_mask:0xf// 000000005980: 0A0858FA FF015019
	v_mfma_f32_16x16x32_fp8_fp8 v[8:11], a[128:129], a[16:17], 0// 000000005988: D3F30008 1A022180
	v_mfma_f32_16x16x32_fp8_fp8 v[8:11], a[130:131], a[18:19], v[8:11]// 000000005990: D3F30008 1C222582
	buffer_load_dword v56, s[20:23], 0 offen lds               // 000000005998: E0511000 80050038
	s_add_u32 m0, 0x300, s48                                   // 0000000059A0: 807C30FF 00000300
	v_mfma_f32_16x16x32_fp8_fp8 v[8:11], a[132:133], a[20:21], v[8:11]// 0000000059A8: D3F30008 1C222984
	v_mfma_f32_16x16x32_fp8_fp8 v[8:11], a[134:135], a[22:23], v[8:11]// 0000000059B0: D3F30008 1C222D86
	buffer_load_dword v57, s[20:23], 0 offen lds               // 0000000059B8: E0511000 80050039
	s_add_u32 m0, 0x400, s48                                   // 0000000059C0: 807C30FF 00000400
	v_fma_f32 v96, v12, v6, v96                                // 0000000059C8: D1CB0060 05820D0C
	v_fma_f32 v97, v13, v6, v97                                // 0000000059D0: D1CB0061 05860D0D
	v_fma_f32 v98, v14, v6, v98                                // 0000000059D8: D1CB0062 058A0D0E
	v_fma_f32 v99, v15, v6, v99                                // 0000000059E0: D1CB0063 058E0D0F
	v_mfma_f32_16x16x32_fp8_fp8 v[12:15], a[136:137], a[16:17], 0// 0000000059E8: D3F3000C 1A022188
	v_mfma_f32_16x16x32_fp8_fp8 v[12:15], a[138:139], a[18:19], v[12:15]// 0000000059F0: D3F3000C 1C32258A
	buffer_load_dword v58, s[20:23], 0 offen lds               // 0000000059F8: E0511000 8005003A
	s_add_u32 m0, 0x500, s48                                   // 000000005A00: 807C30FF 00000500
	v_mfma_f32_16x16x32_fp8_fp8 v[12:15], a[140:141], a[20:21], v[12:15]// 000000005A08: D3F3000C 1C32298C
	v_mfma_f32_16x16x32_fp8_fp8 v[12:15], a[142:143], a[22:23], v[12:15]// 000000005A10: D3F3000C 1C322D8E
	buffer_load_dword v59, s[20:23], 0 offen lds               // 000000005A18: E0511000 8005003B
	s_add_u32 m0, 0x600, s48                                   // 000000005A20: 807C30FF 00000600
	v_fma_f32 v76, v8, v4, v76                                 // 000000005A28: D1CB004C 05320908
	v_fma_f32 v77, v9, v4, v77                                 // 000000005A30: D1CB004D 05360909
	v_fma_f32 v78, v10, v4, v78                                // 000000005A38: D1CB004E 053A090A
	v_fma_f32 v79, v11, v4, v79                                // 000000005A40: D1CB004F 053E090B
	v_mul_f32_dpp v6, v25, v45 row_newbcast:0 row_mask:0xf bank_mask:0xf// 000000005A48: 0A0C5AFA FF015019
	v_mfma_f32_16x16x32_fp8_fp8 v[8:11], a[128:129], a[24:25], 0// 000000005A50: D3F30008 1A023180
	v_mfma_f32_16x16x32_fp8_fp8 v[8:11], a[130:131], a[26:27], v[8:11]// 000000005A58: D3F30008 1C223582
	buffer_load_dword v60, s[20:23], 0 offen lds               // 000000005A60: E0511000 8005003C
	s_add_u32 m0, 0x700, s48                                   // 000000005A68: 807C30FF 00000700
	v_mfma_f32_16x16x32_fp8_fp8 v[8:11], a[132:133], a[28:29], v[8:11]// 000000005A70: D3F30008 1C223984
	v_mfma_f32_16x16x32_fp8_fp8 v[8:11], a[134:135], a[30:31], v[8:11]// 000000005A78: D3F30008 1C223D86
	buffer_load_dword v61, s[20:23], 0 offen lds               // 000000005A80: E0511000 8005003D
	s_add_u32 m0, 0x800, s48                                   // 000000005A88: 807C30FF 00000800
	v_fma_f32 v100, v12, v4, v100                              // 000000005A90: D1CB0064 0592090C
	v_fma_f32 v101, v13, v4, v101                              // 000000005A98: D1CB0065 0596090D
	v_fma_f32 v102, v14, v4, v102                              // 000000005AA0: D1CB0066 059A090E
	v_fma_f32 v103, v15, v4, v103                              // 000000005AA8: D1CB0067 059E090F
	v_mfma_f32_16x16x32_fp8_fp8 v[12:15], a[136:137], a[24:25], 0// 000000005AB0: D3F3000C 1A023188
	v_mfma_f32_16x16x32_fp8_fp8 v[12:15], a[138:139], a[26:27], v[12:15]// 000000005AB8: D3F3000C 1C32358A
	buffer_load_dword v62, s[20:23], 0 offen lds               // 000000005AC0: E0511000 8005003E
	s_add_u32 m0, 0x900, s48                                   // 000000005AC8: 807C30FF 00000900
	v_mfma_f32_16x16x32_fp8_fp8 v[12:15], a[140:141], a[28:29], v[12:15]// 000000005AD0: D3F3000C 1C32398C
	v_mfma_f32_16x16x32_fp8_fp8 v[12:15], a[142:143], a[30:31], v[12:15]// 000000005AD8: D3F3000C 1C323D8E
	buffer_load_dword v63, s[20:23], 0 offen lds               // 000000005AE0: E0511000 8005003F
	s_add_u32 m0, 0xa00, s48                                   // 000000005AE8: 807C30FF 00000A00
	v_fma_f32 v80, v8, v6, v80                                 // 000000005AF0: D1CB0050 05420D08
	v_fma_f32 v81, v9, v6, v81                                 // 000000005AF8: D1CB0051 05460D09
	v_fma_f32 v82, v10, v6, v82                                // 000000005B00: D1CB0052 054A0D0A
	v_fma_f32 v83, v11, v6, v83                                // 000000005B08: D1CB0053 054E0D0B
	v_mul_f32_dpp v4, v25, v46 row_newbcast:0 row_mask:0xf bank_mask:0xf// 000000005B10: 0A085CFA FF015019
	v_mfma_f32_16x16x32_fp8_fp8 v[8:11], a[128:129], a[32:33], 0// 000000005B18: D3F30008 1A024180
	v_mfma_f32_16x16x32_fp8_fp8 v[8:11], a[130:131], a[34:35], v[8:11]// 000000005B20: D3F30008 1C224582
	buffer_load_dword v64, s[20:23], 0 offen lds               // 000000005B28: E0511000 80050040
	s_add_u32 m0, 0xb00, s48                                   // 000000005B30: 807C30FF 00000B00
	v_mfma_f32_16x16x32_fp8_fp8 v[8:11], a[132:133], a[36:37], v[8:11]// 000000005B38: D3F30008 1C224984
	v_mfma_f32_16x16x32_fp8_fp8 v[8:11], a[134:135], a[38:39], v[8:11]// 000000005B40: D3F30008 1C224D86
	buffer_load_dword v65, s[20:23], 0 offen lds               // 000000005B48: E0511000 80050041
	s_add_u32 m0, 0, s49                                       // 000000005B50: 807C3180
	v_fma_f32 v104, v12, v6, v104                              // 000000005B54: D1CB0068 05A20D0C
	v_fma_f32 v105, v13, v6, v105                              // 000000005B5C: D1CB0069 05A60D0D
	v_fma_f32 v106, v14, v6, v106                              // 000000005B64: D1CB006A 05AA0D0E
	v_fma_f32 v107, v15, v6, v107                              // 000000005B6C: D1CB006B 05AE0D0F
	v_mfma_f32_16x16x32_fp8_fp8 v[12:15], a[136:137], a[32:33], 0// 000000005B74: D3F3000C 1A024188
	v_mfma_f32_16x16x32_fp8_fp8 v[12:15], a[138:139], a[34:35], v[12:15]// 000000005B7C: D3F3000C 1C32458A
	buffer_load_dword v36, v30, s[28:31], 0 offen              // 000000005B84: E0501000 8007241E
	v_mfma_f32_16x16x32_fp8_fp8 v[12:15], a[140:141], a[36:37], v[12:15]// 000000005B8C: D3F3000C 1C32498C
	v_mfma_f32_16x16x32_fp8_fp8 v[12:15], a[142:143], a[38:39], v[12:15]// 000000005B94: D3F3000C 1C324D8E
	buffer_load_dword v37, v31, s[28:31], 0 offen              // 000000005B9C: E0501000 8007251F
	v_fma_f32 v84, v8, v4, v84                                 // 000000005BA4: D1CB0054 05520908
	v_fma_f32 v85, v9, v4, v85                                 // 000000005BAC: D1CB0055 05560909
	v_fma_f32 v86, v10, v4, v86                                // 000000005BB4: D1CB0056 055A090A
	v_fma_f32 v87, v11, v4, v87                                // 000000005BBC: D1CB0057 055E090B
	v_mul_f32_dpp v6, v25, v47 row_newbcast:0 row_mask:0xf bank_mask:0xf// 000000005BC4: 0A0C5EFA FF015019
	v_mfma_f32_16x16x32_fp8_fp8 v[8:11], a[128:129], a[40:41], 0// 000000005BCC: D3F30008 1A025180
	v_mfma_f32_16x16x32_fp8_fp8 v[8:11], a[130:131], a[42:43], v[8:11]// 000000005BD4: D3F30008 1C225582
	buffer_load_dword v38, v32, s[28:31], 0 offen              // 000000005BDC: E0501000 80072620
	v_mfma_f32_16x16x32_fp8_fp8 v[8:11], a[132:133], a[44:45], v[8:11]// 000000005BE4: D3F30008 1C225984
	v_mfma_f32_16x16x32_fp8_fp8 v[8:11], a[134:135], a[46:47], v[8:11]// 000000005BEC: D3F30008 1C225D86
	buffer_load_dword v39, v33, s[28:31], 0 offen              // 000000005BF4: E0501000 80072721
	v_fma_f32 v108, v12, v4, v108                              // 000000005BFC: D1CB006C 05B2090C
	v_fma_f32 v109, v13, v4, v109                              // 000000005C04: D1CB006D 05B6090D
	v_fma_f32 v110, v14, v4, v110                              // 000000005C0C: D1CB006E 05BA090E
	v_fma_f32 v111, v15, v4, v111                              // 000000005C14: D1CB006F 05BE090F
	v_mfma_f32_16x16x32_fp8_fp8 v[12:15], a[136:137], a[40:41], 0// 000000005C1C: D3F3000C 1A025188
	v_mfma_f32_16x16x32_fp8_fp8 v[12:15], a[138:139], a[42:43], v[12:15]// 000000005C24: D3F3000C 1C32558A
	buffer_load_dword v40, v34, s[28:31], 0 offen              // 000000005C2C: E0501000 80072822
	v_mfma_f32_16x16x32_fp8_fp8 v[12:15], a[140:141], a[44:45], v[12:15]// 000000005C34: D3F3000C 1C32598C
	v_mfma_f32_16x16x32_fp8_fp8 v[12:15], a[142:143], a[46:47], v[12:15]// 000000005C3C: D3F3000C 1C325D8E
	buffer_load_dword v41, v35, s[28:31], 0 offen              // 000000005C44: E0501000 80072923
	v_fma_f32 v88, v8, v6, v88                                 // 000000005C4C: D1CB0058 05620D08
	v_fma_f32 v89, v9, v6, v89                                 // 000000005C54: D1CB0059 05660D09
	v_fma_f32 v90, v10, v6, v90                                // 000000005C5C: D1CB005A 056A0D0A
	v_fma_f32 v91, v11, v6, v91                                // 000000005C64: D1CB005B 056E0D0B
	v_fma_f32 v112, v12, v6, v112                              // 000000005C6C: D1CB0070 05C20D0C
	v_fma_f32 v113, v13, v6, v113                              // 000000005C74: D1CB0071 05C60D0D
	v_fma_f32 v114, v14, v6, v114                              // 000000005C7C: D1CB0072 05CA0D0E
	v_fma_f32 v115, v15, v6, v115                              // 000000005C84: D1CB0073 05CE0D0F
	s_waitcnt vmcnt(23)                                        // 000000005C8C: BF8C4F77
	s_barrier                                                  // 000000005C90: BF8A0000
	v_mul_f32_dpp v4, v28, v42 row_newbcast:0 row_mask:0xf bank_mask:0xf// 000000005C94: 0A0854FA FF01501C
	v_mfma_f32_16x16x32_fp8_fp8 v[8:11], a[96:97], a[0:1], 0   // 000000005C9C: D3F30008 1A020160
	buffer_load_dword v29, v23, s[32:35], 0 offen              // 000000005CA4: E0501000 80081D17
	v_mfma_f32_16x16x32_fp8_fp8 v[8:11], a[98:99], a[2:3], v[8:11]// 000000005CAC: D3F30008 1C220562
	buffer_load_dwordx4 a[128:131], v66, s[84:87], 0 offen     // 000000005CB4: E05C1000 80958042
	v_mfma_f32_16x16x32_fp8_fp8 v[8:11], a[100:101], a[4:5], v[8:11]// 000000005CBC: D3F30008 1C220964
	v_mfma_f32_16x16x32_fp8_fp8 v[8:11], a[102:103], a[6:7], v[8:11]// 000000005CC4: D3F30008 1C220D66
	ds_read_b128 a[48:51], v2 offset:24832                     // 000000005CCC: DBFE6100 30000002
	ds_read_b128 a[52:55], v2 offset:24896                     // 000000005CD4: DBFE6140 34000002
	v_mfma_f32_16x16x32_fp8_fp8 v[12:15], a[104:105], a[0:1], 0// 000000005CDC: D3F3000C 1A020168
	v_mfma_f32_16x16x32_fp8_fp8 v[12:15], a[106:107], a[2:3], v[12:15]// 000000005CE4: D3F3000C 1C32056A
	buffer_load_dwordx4 a[132:135], v66, s[84:87], 0 offen offset:1024// 000000005CEC: E05C1400 80958442
	v_mfma_f32_16x16x32_fp8_fp8 v[12:15], a[108:109], a[4:5], v[12:15]// 000000005CF4: D3F3000C 1C32096C
	v_mfma_f32_16x16x32_fp8_fp8 v[12:15], a[110:111], a[6:7], v[12:15]// 000000005CFC: D3F3000C 1C320D6E
	ds_read_b128 a[56:59], v2 offset:25344                     // 000000005D04: DBFE6300 38000002
	ds_read_b128 a[60:63], v2 offset:25408                     // 000000005D0C: DBFE6340 3C000002
	v_fma_f32 v116, v8, v4, v116                               // 000000005D14: D1CB0074 05D20908
	v_fma_f32 v117, v9, v4, v117                               // 000000005D1C: D1CB0075 05D60909
	v_fma_f32 v118, v10, v4, v118                              // 000000005D24: D1CB0076 05DA090A
	v_fma_f32 v119, v11, v4, v119                              // 000000005D2C: D1CB0077 05DE090B
	v_mul_f32_dpp v6, v28, v43 row_newbcast:0 row_mask:0xf bank_mask:0xf// 000000005D34: 0A0C56FA FF01501C
	v_mfma_f32_16x16x32_fp8_fp8 v[8:11], a[96:97], a[8:9], 0   // 000000005D3C: D3F30008 1A021160
	v_mfma_f32_16x16x32_fp8_fp8 v[8:11], a[98:99], a[10:11], v[8:11]// 000000005D44: D3F30008 1C221562
	buffer_load_dwordx4 a[136:139], v67, s[84:87], 0 offen     // 000000005D4C: E05C1000 80958843
	v_mfma_f32_16x16x32_fp8_fp8 v[8:11], a[100:101], a[12:13], v[8:11]// 000000005D54: D3F30008 1C221964
	v_mfma_f32_16x16x32_fp8_fp8 v[8:11], a[102:103], a[14:15], v[8:11]// 000000005D5C: D3F30008 1C221D66
	ds_read_b128 a[64:67], v2 offset:25856                     // 000000005D64: DBFE6500 40000002
	ds_read_b128 a[68:71], v2 offset:25920                     // 000000005D6C: DBFE6540 44000002
	v_fma_f32 v140, v12, v4, v140                              // 000000005D74: D1CB008C 0632090C
	v_fma_f32 v141, v13, v4, v141                              // 000000005D7C: D1CB008D 0636090D
	v_fma_f32 v142, v14, v4, v142                              // 000000005D84: D1CB008E 063A090E
	v_fma_f32 v143, v15, v4, v143                              // 000000005D8C: D1CB008F 063E090F
	v_mfma_f32_16x16x32_fp8_fp8 v[12:15], a[104:105], a[8:9], 0// 000000005D94: D3F3000C 1A021168
	v_mfma_f32_16x16x32_fp8_fp8 v[12:15], a[106:107], a[10:11], v[12:15]// 000000005D9C: D3F3000C 1C32156A
	buffer_load_dwordx4 a[140:143], v67, s[84:87], 0 offen offset:1024// 000000005DA4: E05C1400 80958C43
	v_mfma_f32_16x16x32_fp8_fp8 v[12:15], a[108:109], a[12:13], v[12:15]// 000000005DAC: D3F3000C 1C32196C
	v_mfma_f32_16x16x32_fp8_fp8 v[12:15], a[110:111], a[14:15], v[12:15]// 000000005DB4: D3F3000C 1C321D6E
	ds_read_b128 a[72:75], v2 offset:26368                     // 000000005DBC: DBFE6700 48000002
	ds_read_b128 a[76:79], v2 offset:26432                     // 000000005DC4: DBFE6740 4C000002
	v_fma_f32 v120, v8, v6, v120                               // 000000005DCC: D1CB0078 05E20D08
	v_fma_f32 v121, v9, v6, v121                               // 000000005DD4: D1CB0079 05E60D09
	v_fma_f32 v122, v10, v6, v122                              // 000000005DDC: D1CB007A 05EA0D0A
	v_fma_f32 v123, v11, v6, v123                              // 000000005DE4: D1CB007B 05EE0D0B
	v_mul_f32_dpp v4, v28, v44 row_newbcast:0 row_mask:0xf bank_mask:0xf// 000000005DEC: 0A0858FA FF01501C
	v_mfma_f32_16x16x32_fp8_fp8 v[8:11], a[96:97], a[16:17], 0 // 000000005DF4: D3F30008 1A022160
	v_mfma_f32_16x16x32_fp8_fp8 v[8:11], a[98:99], a[18:19], v[8:11]// 000000005DFC: D3F30008 1C222562
	v_mfma_f32_16x16x32_fp8_fp8 v[8:11], a[100:101], a[20:21], v[8:11]// 000000005E04: D3F30008 1C222964
	v_mfma_f32_16x16x32_fp8_fp8 v[8:11], a[102:103], a[22:23], v[8:11]// 000000005E0C: D3F30008 1C222D66
	ds_read_b128 a[80:83], v2 offset:26880                     // 000000005E14: DBFE6900 50000002
	ds_read_b128 a[84:87], v2 offset:26944                     // 000000005E1C: DBFE6940 54000002
	v_fma_f32 v144, v12, v6, v144                              // 000000005E24: D1CB0090 06420D0C
	v_fma_f32 v145, v13, v6, v145                              // 000000005E2C: D1CB0091 06460D0D
	v_fma_f32 v146, v14, v6, v146                              // 000000005E34: D1CB0092 064A0D0E
	v_fma_f32 v147, v15, v6, v147                              // 000000005E3C: D1CB0093 064E0D0F
	v_mfma_f32_16x16x32_fp8_fp8 v[12:15], a[104:105], a[16:17], 0// 000000005E44: D3F3000C 1A022168
	v_mfma_f32_16x16x32_fp8_fp8 v[12:15], a[106:107], a[18:19], v[12:15]// 000000005E4C: D3F3000C 1C32256A
	v_mfma_f32_16x16x32_fp8_fp8 v[12:15], a[108:109], a[20:21], v[12:15]// 000000005E54: D3F3000C 1C32296C
	v_mfma_f32_16x16x32_fp8_fp8 v[12:15], a[110:111], a[22:23], v[12:15]// 000000005E5C: D3F3000C 1C322D6E
	ds_read_b128 a[88:91], v2 offset:27392                     // 000000005E64: DBFE6B00 58000002
	ds_read_b128 a[92:95], v2 offset:27456                     // 000000005E6C: DBFE6B40 5C000002
	v_fma_f32 v124, v8, v4, v124                               // 000000005E74: D1CB007C 05F20908
	v_fma_f32 v125, v9, v4, v125                               // 000000005E7C: D1CB007D 05F60909
	v_fma_f32 v126, v10, v4, v126                              // 000000005E84: D1CB007E 05FA090A
	v_fma_f32 v127, v11, v4, v127                              // 000000005E8C: D1CB007F 05FE090B
	v_mul_f32_dpp v6, v28, v45 row_newbcast:0 row_mask:0xf bank_mask:0xf// 000000005E94: 0A0C5AFA FF01501C
	v_mfma_f32_16x16x32_fp8_fp8 v[8:11], a[96:97], a[24:25], 0 // 000000005E9C: D3F30008 1A023160
	v_mfma_f32_16x16x32_fp8_fp8 v[8:11], a[98:99], a[26:27], v[8:11]// 000000005EA4: D3F30008 1C223562
	v_mfma_f32_16x16x32_fp8_fp8 v[8:11], a[100:101], a[28:29], v[8:11]// 000000005EAC: D3F30008 1C223964
	v_mfma_f32_16x16x32_fp8_fp8 v[8:11], a[102:103], a[30:31], v[8:11]// 000000005EB4: D3F30008 1C223D66
	v_fma_f32 v148, v12, v4, v148                              // 000000005EBC: D1CB0094 0652090C
	v_fma_f32 v149, v13, v4, v149                              // 000000005EC4: D1CB0095 0656090D
	v_fma_f32 v150, v14, v4, v150                              // 000000005ECC: D1CB0096 065A090E
	v_fma_f32 v151, v15, v4, v151                              // 000000005ED4: D1CB0097 065E090F
	v_mfma_f32_16x16x32_fp8_fp8 v[12:15], a[104:105], a[24:25], 0// 000000005EDC: D3F3000C 1A023168
	v_mfma_f32_16x16x32_fp8_fp8 v[12:15], a[106:107], a[26:27], v[12:15]// 000000005EE4: D3F3000C 1C32356A
	v_mfma_f32_16x16x32_fp8_fp8 v[12:15], a[108:109], a[28:29], v[12:15]// 000000005EEC: D3F3000C 1C32396C
	v_mfma_f32_16x16x32_fp8_fp8 v[12:15], a[110:111], a[30:31], v[12:15]// 000000005EF4: D3F3000C 1C323D6E
	v_fma_f32 v128, v8, v6, v128                               // 000000005EFC: D1CB0080 06020D08
	v_fma_f32 v129, v9, v6, v129                               // 000000005F04: D1CB0081 06060D09
	v_fma_f32 v130, v10, v6, v130                              // 000000005F0C: D1CB0082 060A0D0A
	v_fma_f32 v131, v11, v6, v131                              // 000000005F14: D1CB0083 060E0D0B
	v_mul_f32_dpp v4, v28, v46 row_newbcast:0 row_mask:0xf bank_mask:0xf// 000000005F1C: 0A085CFA FF01501C
	v_mfma_f32_16x16x32_fp8_fp8 v[8:11], a[96:97], a[32:33], 0 // 000000005F24: D3F30008 1A024160
	v_mfma_f32_16x16x32_fp8_fp8 v[8:11], a[98:99], a[34:35], v[8:11]// 000000005F2C: D3F30008 1C224562
	v_mfma_f32_16x16x32_fp8_fp8 v[8:11], a[100:101], a[36:37], v[8:11]// 000000005F34: D3F30008 1C224964
	v_mfma_f32_16x16x32_fp8_fp8 v[8:11], a[102:103], a[38:39], v[8:11]// 000000005F3C: D3F30008 1C224D66
	v_fma_f32 v152, v12, v6, v152                              // 000000005F44: D1CB0098 06620D0C
	v_fma_f32 v153, v13, v6, v153                              // 000000005F4C: D1CB0099 06660D0D
	v_fma_f32 v154, v14, v6, v154                              // 000000005F54: D1CB009A 066A0D0E
	v_fma_f32 v155, v15, v6, v155                              // 000000005F5C: D1CB009B 066E0D0F
	v_mfma_f32_16x16x32_fp8_fp8 v[12:15], a[104:105], a[32:33], 0// 000000005F64: D3F3000C 1A024168
	v_mfma_f32_16x16x32_fp8_fp8 v[12:15], a[106:107], a[34:35], v[12:15]// 000000005F6C: D3F3000C 1C32456A
	v_mfma_f32_16x16x32_fp8_fp8 v[12:15], a[108:109], a[36:37], v[12:15]// 000000005F74: D3F3000C 1C32496C
	v_mfma_f32_16x16x32_fp8_fp8 v[12:15], a[110:111], a[38:39], v[12:15]// 000000005F7C: D3F3000C 1C324D6E
	v_fma_f32 v132, v8, v4, v132                               // 000000005F84: D1CB0084 06120908
	v_fma_f32 v133, v9, v4, v133                               // 000000005F8C: D1CB0085 06160909
	v_fma_f32 v134, v10, v4, v134                              // 000000005F94: D1CB0086 061A090A
	v_fma_f32 v135, v11, v4, v135                              // 000000005F9C: D1CB0087 061E090B
	v_mul_f32_dpp v6, v28, v47 row_newbcast:0 row_mask:0xf bank_mask:0xf// 000000005FA4: 0A0C5EFA FF01501C
	v_mfma_f32_16x16x32_fp8_fp8 v[8:11], a[96:97], a[40:41], 0 // 000000005FAC: D3F30008 1A025160
	s_add_u32 s60, 0x180, s80                                  // 000000005FB4: 803C50FF 00000180
	s_cmp_lt_u32 s60, s81                                      // 000000005FBC: BF0A513C
	s_cselect_b32 s57, s57, 0                                  // 000000005FC0: 85398039
	s_cselect_b32 s3, s3, 0                                    // 000000005FC4: 85038003
	v_mfma_f32_16x16x32_fp8_fp8 v[8:11], a[98:99], a[42:43], v[8:11]// 000000005FC8: D3F30008 1C225562
	s_add_u32 s60, 0x100, s80                                  // 000000005FD0: 803C50FF 00000100
	s_cmp_lt_u32 s60, s81                                      // 000000005FD8: BF0A513C
	s_cselect_b32 s58, s58, 0                                  // 000000005FDC: 853A803A
	v_mfma_f32_16x16x32_fp8_fp8 v[8:11], a[100:101], a[44:45], v[8:11]// 000000005FE0: D3F30008 1C225964
	s_add_u32 s60, 0x100, s80                                  // 000000005FE8: 803C50FF 00000100
	s_cmp_lt_u32 s60, s81                                      // 000000005FF0: BF0A513C
	s_cselect_b32 s83, s83, 0                                  // 000000005FF4: 85538053
	s_cselect_b32 s4, s4, 0                                    // 000000005FF8: 85048004
	v_mfma_f32_16x16x32_fp8_fp8 v[8:11], a[102:103], a[46:47], v[8:11]// 000000005FFC: D3F30008 1C225D66
	s_add_u32 s24, s58, s24                                    // 000000006004: 8018183A
	s_addc_u32 s25, 0, s25                                     // 000000006008: 82191980
	v_fma_f32 v156, v12, v4, v156                              // 00000000600C: D1CB009C 0672090C
	v_fma_f32 v157, v13, v4, v157                              // 000000006014: D1CB009D 0676090D
	v_fma_f32 v158, v14, v4, v158                              // 00000000601C: D1CB009E 067A090E
	v_fma_f32 v159, v15, v4, v159                              // 000000006024: D1CB009F 067E090F
	v_mfma_f32_16x16x32_fp8_fp8 v[12:15], a[104:105], a[40:41], 0// 00000000602C: D3F3000C 1A025168
	s_add_u32 s20, s57, s20                                    // 000000006034: 80141439
	s_addc_u32 s21, 0, s21                                     // 000000006038: 82151580
	s_add_u32 s28, s3, s28                                     // 00000000603C: 801C1C03
	s_addc_u32 s29, 0, s29                                     // 000000006040: 821D1D80
	v_mfma_f32_16x16x32_fp8_fp8 v[12:15], a[106:107], a[42:43], v[12:15]// 000000006044: D3F3000C 1C32556A
	s_add_u32 s84, s83, s84                                    // 00000000604C: 80545453
	s_addc_u32 s85, 0, s85                                     // 000000006050: 82555580
	v_mfma_f32_16x16x32_fp8_fp8 v[12:15], a[108:109], a[44:45], v[12:15]// 000000006054: D3F3000C 1C32596C
	s_add_u32 s32, s4, s32                                     // 00000000605C: 80202004
	s_addc_u32 s33, 0, s33                                     // 000000006060: 82212180
	v_mfma_f32_16x16x32_fp8_fp8 v[12:15], a[110:111], a[46:47], v[12:15]// 000000006064: D3F3000C 1C325D6E
	v_fma_f32 v136, v8, v6, v136                               // 00000000606C: D1CB0088 06220D08
	v_fma_f32 v137, v9, v6, v137                               // 000000006074: D1CB0089 06260D09
	v_fma_f32 v138, v10, v6, v138                              // 00000000607C: D1CB008A 062A0D0A
	v_fma_f32 v139, v11, v6, v139                              // 000000006084: D1CB008B 062E0D0B
	v_fma_f32 v160, v12, v6, v160                              // 00000000608C: D1CB00A0 06820D0C
	v_fma_f32 v161, v13, v6, v161                              // 000000006094: D1CB00A1 06860D0D
	v_fma_f32 v162, v14, v6, v162                              // 00000000609C: D1CB00A2 068A0D0E
	v_fma_f32 v163, v15, v6, v163                              // 0000000060A4: D1CB00A3 068E0D0F
	s_addk_i32 s80, 0x80                                       // 0000000060AC: B7500080
	s_cmp_lt_i32 s80, s81                                      // 0000000060B0: BF045150
	s_cbranch_scc0 label_0FCC                                  // 0000000060B4: BF84021E
	s_waitcnt vmcnt(23) lgkmcnt(0)                             // 0000000060B8: BF8C4077
	v_mul_f32_dpp v4, v26, v48 row_newbcast:0 row_mask:0xf bank_mask:0xf// 0000000060BC: 0A0860FA FF01501A
	v_mfma_f32_16x16x32_fp8_fp8 v[8:11], a[112:113], a[48:49], 0// 0000000060C4: D3F30008 1A026170
	buffer_load_dword v24, v22, s[32:35], 0 offen              // 0000000060CC: E0501000 80081816
	v_mfma_f32_16x16x32_fp8_fp8 v[8:11], a[114:115], a[50:51], v[8:11]// 0000000060D4: D3F30008 1C226572
	buffer_load_dwordx4 a[96:99], v66, s[24:27], 0 offen       // 0000000060DC: E05C1000 80866042
	v_mfma_f32_16x16x32_fp8_fp8 v[8:11], a[116:117], a[52:53], v[8:11]// 0000000060E4: D3F30008 1C226974
	v_mfma_f32_16x16x32_fp8_fp8 v[8:11], a[118:119], a[54:55], v[8:11]// 0000000060EC: D3F30008 1C226D76
	v_mfma_f32_16x16x32_fp8_fp8 v[12:15], a[120:121], a[48:49], 0// 0000000060F4: D3F3000C 1A026178
	v_mfma_f32_16x16x32_fp8_fp8 v[12:15], a[122:123], a[50:51], v[12:15]// 0000000060FC: D3F3000C 1C32657A
	buffer_load_dwordx4 a[100:103], v66, s[24:27], 0 offen offset:1024// 000000006104: E05C1400 80866442
	v_mfma_f32_16x16x32_fp8_fp8 v[12:15], a[124:125], a[52:53], v[12:15]// 00000000610C: D3F3000C 1C32697C
	v_mfma_f32_16x16x32_fp8_fp8 v[12:15], a[126:127], a[54:55], v[12:15]// 000000006114: D3F3000C 1C326D7E
	v_fma_f32 v68, v8, v4, v68                                 // 00000000611C: D1CB0044 05120908
	v_fma_f32 v69, v9, v4, v69                                 // 000000006124: D1CB0045 05160909
	v_fma_f32 v70, v10, v4, v70                                // 00000000612C: D1CB0046 051A090A
	v_fma_f32 v71, v11, v4, v71                                // 000000006134: D1CB0047 051E090B
	v_mul_f32_dpp v6, v26, v49 row_newbcast:0 row_mask:0xf bank_mask:0xf// 00000000613C: 0A0C62FA FF01501A
	v_mfma_f32_16x16x32_fp8_fp8 v[8:11], a[112:113], a[56:57], 0// 000000006144: D3F30008 1A027170
	v_mfma_f32_16x16x32_fp8_fp8 v[8:11], a[114:115], a[58:59], v[8:11]// 00000000614C: D3F30008 1C227572
	buffer_load_dwordx4 a[104:107], v67, s[24:27], 0 offen     // 000000006154: E05C1000 80866843
	v_mfma_f32_16x16x32_fp8_fp8 v[8:11], a[116:117], a[60:61], v[8:11]// 00000000615C: D3F30008 1C227974
	v_mfma_f32_16x16x32_fp8_fp8 v[8:11], a[118:119], a[62:63], v[8:11]// 000000006164: D3F30008 1C227D76
	v_fma_f32 v92, v12, v4, v92                                // 00000000616C: D1CB005C 0572090C
	v_fma_f32 v93, v13, v4, v93                                // 000000006174: D1CB005D 0576090D
	v_fma_f32 v94, v14, v4, v94                                // 00000000617C: D1CB005E 057A090E
	v_fma_f32 v95, v15, v4, v95                                // 000000006184: D1CB005F 057E090F
	v_mfma_f32_16x16x32_fp8_fp8 v[12:15], a[120:121], a[56:57], 0// 00000000618C: D3F3000C 1A027178
	v_mfma_f32_16x16x32_fp8_fp8 v[12:15], a[122:123], a[58:59], v[12:15]// 000000006194: D3F3000C 1C32757A
	buffer_load_dwordx4 a[108:111], v67, s[24:27], 0 offen offset:1024// 00000000619C: E05C1400 80866C43
	buffer_load_dword v54, s[20:23], 0 offen lds               // 0000000061A4: E0511000 80050036
	s_add_u32 m0, 0x100, s49                                   // 0000000061AC: 807C31FF 00000100
	v_mfma_f32_16x16x32_fp8_fp8 v[12:15], a[124:125], a[60:61], v[12:15]// 0000000061B4: D3F3000C 1C32797C
	v_mfma_f32_16x16x32_fp8_fp8 v[12:15], a[126:127], a[62:63], v[12:15]// 0000000061BC: D3F3000C 1C327D7E
	buffer_load_dword v55, s[20:23], 0 offen lds               // 0000000061C4: E0511000 80050037
	s_add_u32 m0, 0x200, s49                                   // 0000000061CC: 807C31FF 00000200
	v_fma_f32 v72, v8, v6, v72                                 // 0000000061D4: D1CB0048 05220D08
	v_fma_f32 v73, v9, v6, v73                                 // 0000000061DC: D1CB0049 05260D09
	v_fma_f32 v74, v10, v6, v74                                // 0000000061E4: D1CB004A 052A0D0A
	v_fma_f32 v75, v11, v6, v75                                // 0000000061EC: D1CB004B 052E0D0B
	v_mul_f32_dpp v4, v26, v50 row_newbcast:0 row_mask:0xf bank_mask:0xf// 0000000061F4: 0A0864FA FF01501A
	v_mfma_f32_16x16x32_fp8_fp8 v[8:11], a[112:113], a[64:65], 0// 0000000061FC: D3F30008 1A028170
	v_mfma_f32_16x16x32_fp8_fp8 v[8:11], a[114:115], a[66:67], v[8:11]// 000000006204: D3F30008 1C228572
	buffer_load_dword v56, s[20:23], 0 offen lds               // 00000000620C: E0511000 80050038
	s_add_u32 m0, 0x300, s49                                   // 000000006214: 807C31FF 00000300
	v_mfma_f32_16x16x32_fp8_fp8 v[8:11], a[116:117], a[68:69], v[8:11]// 00000000621C: D3F30008 1C228974
	v_mfma_f32_16x16x32_fp8_fp8 v[8:11], a[118:119], a[70:71], v[8:11]// 000000006224: D3F30008 1C228D76
	buffer_load_dword v57, s[20:23], 0 offen lds               // 00000000622C: E0511000 80050039
	s_add_u32 m0, 0x400, s49                                   // 000000006234: 807C31FF 00000400
	v_fma_f32 v96, v12, v6, v96                                // 00000000623C: D1CB0060 05820D0C
	v_fma_f32 v97, v13, v6, v97                                // 000000006244: D1CB0061 05860D0D
	v_fma_f32 v98, v14, v6, v98                                // 00000000624C: D1CB0062 058A0D0E
	v_fma_f32 v99, v15, v6, v99                                // 000000006254: D1CB0063 058E0D0F
	v_mfma_f32_16x16x32_fp8_fp8 v[12:15], a[120:121], a[64:65], 0// 00000000625C: D3F3000C 1A028178
	v_mfma_f32_16x16x32_fp8_fp8 v[12:15], a[122:123], a[66:67], v[12:15]// 000000006264: D3F3000C 1C32857A
	buffer_load_dword v58, s[20:23], 0 offen lds               // 00000000626C: E0511000 8005003A
	s_add_u32 m0, 0x500, s49                                   // 000000006274: 807C31FF 00000500
	v_mfma_f32_16x16x32_fp8_fp8 v[12:15], a[124:125], a[68:69], v[12:15]// 00000000627C: D3F3000C 1C32897C
	v_mfma_f32_16x16x32_fp8_fp8 v[12:15], a[126:127], a[70:71], v[12:15]// 000000006284: D3F3000C 1C328D7E
	buffer_load_dword v59, s[20:23], 0 offen lds               // 00000000628C: E0511000 8005003B
	s_add_u32 m0, 0x600, s49                                   // 000000006294: 807C31FF 00000600
	v_fma_f32 v76, v8, v4, v76                                 // 00000000629C: D1CB004C 05320908
	v_fma_f32 v77, v9, v4, v77                                 // 0000000062A4: D1CB004D 05360909
	v_fma_f32 v78, v10, v4, v78                                // 0000000062AC: D1CB004E 053A090A
	v_fma_f32 v79, v11, v4, v79                                // 0000000062B4: D1CB004F 053E090B
	v_mul_f32_dpp v6, v26, v51 row_newbcast:0 row_mask:0xf bank_mask:0xf// 0000000062BC: 0A0C66FA FF01501A
	v_mfma_f32_16x16x32_fp8_fp8 v[8:11], a[112:113], a[72:73], 0// 0000000062C4: D3F30008 1A029170
	v_mfma_f32_16x16x32_fp8_fp8 v[8:11], a[114:115], a[74:75], v[8:11]// 0000000062CC: D3F30008 1C229572
	buffer_load_dword v60, s[20:23], 0 offen lds               // 0000000062D4: E0511000 8005003C
	s_add_u32 m0, 0x700, s49                                   // 0000000062DC: 807C31FF 00000700
	v_mfma_f32_16x16x32_fp8_fp8 v[8:11], a[116:117], a[76:77], v[8:11]// 0000000062E4: D3F30008 1C229974
	v_mfma_f32_16x16x32_fp8_fp8 v[8:11], a[118:119], a[78:79], v[8:11]// 0000000062EC: D3F30008 1C229D76
	buffer_load_dword v61, s[20:23], 0 offen lds               // 0000000062F4: E0511000 8005003D
	s_add_u32 m0, 0x800, s49                                   // 0000000062FC: 807C31FF 00000800
	v_fma_f32 v100, v12, v4, v100                              // 000000006304: D1CB0064 0592090C
	v_fma_f32 v101, v13, v4, v101                              // 00000000630C: D1CB0065 0596090D
	v_fma_f32 v102, v14, v4, v102                              // 000000006314: D1CB0066 059A090E
	v_fma_f32 v103, v15, v4, v103                              // 00000000631C: D1CB0067 059E090F
	v_mfma_f32_16x16x32_fp8_fp8 v[12:15], a[120:121], a[72:73], 0// 000000006324: D3F3000C 1A029178
	v_mfma_f32_16x16x32_fp8_fp8 v[12:15], a[122:123], a[74:75], v[12:15]// 00000000632C: D3F3000C 1C32957A
	buffer_load_dword v62, s[20:23], 0 offen lds               // 000000006334: E0511000 8005003E
	s_add_u32 m0, 0x900, s49                                   // 00000000633C: 807C31FF 00000900
	v_mfma_f32_16x16x32_fp8_fp8 v[12:15], a[124:125], a[76:77], v[12:15]// 000000006344: D3F3000C 1C32997C
	v_mfma_f32_16x16x32_fp8_fp8 v[12:15], a[126:127], a[78:79], v[12:15]// 00000000634C: D3F3000C 1C329D7E
	buffer_load_dword v63, s[20:23], 0 offen lds               // 000000006354: E0511000 8005003F
	s_add_u32 m0, 0xa00, s49                                   // 00000000635C: 807C31FF 00000A00
	v_fma_f32 v80, v8, v6, v80                                 // 000000006364: D1CB0050 05420D08
	v_fma_f32 v81, v9, v6, v81                                 // 00000000636C: D1CB0051 05460D09
	v_fma_f32 v82, v10, v6, v82                                // 000000006374: D1CB0052 054A0D0A
	v_fma_f32 v83, v11, v6, v83                                // 00000000637C: D1CB0053 054E0D0B
	v_mul_f32_dpp v4, v26, v52 row_newbcast:0 row_mask:0xf bank_mask:0xf// 000000006384: 0A0868FA FF01501A
	v_mfma_f32_16x16x32_fp8_fp8 v[8:11], a[112:113], a[80:81], 0// 00000000638C: D3F30008 1A02A170
	v_mfma_f32_16x16x32_fp8_fp8 v[8:11], a[114:115], a[82:83], v[8:11]// 000000006394: D3F30008 1C22A572
	buffer_load_dword v64, s[20:23], 0 offen lds               // 00000000639C: E0511000 80050040
	s_add_u32 m0, 0xb00, s49                                   // 0000000063A4: 807C31FF 00000B00
	v_mfma_f32_16x16x32_fp8_fp8 v[8:11], a[116:117], a[84:85], v[8:11]// 0000000063AC: D3F30008 1C22A974
	v_mfma_f32_16x16x32_fp8_fp8 v[8:11], a[118:119], a[86:87], v[8:11]// 0000000063B4: D3F30008 1C22AD76
	buffer_load_dword v65, s[20:23], 0 offen lds               // 0000000063BC: E0511000 80050041
	s_add_u32 m0, 0, s50                                       // 0000000063C4: 807C3280
	v_fma_f32 v104, v12, v6, v104                              // 0000000063C8: D1CB0068 05A20D0C
	v_fma_f32 v105, v13, v6, v105                              // 0000000063D0: D1CB0069 05A60D0D
	v_fma_f32 v106, v14, v6, v106                              // 0000000063D8: D1CB006A 05AA0D0E
	v_fma_f32 v107, v15, v6, v107                              // 0000000063E0: D1CB006B 05AE0D0F
	v_mfma_f32_16x16x32_fp8_fp8 v[12:15], a[120:121], a[80:81], 0// 0000000063E8: D3F3000C 1A02A178
	v_mfma_f32_16x16x32_fp8_fp8 v[12:15], a[122:123], a[82:83], v[12:15]// 0000000063F0: D3F3000C 1C32A57A
	buffer_load_dword v42, v30, s[28:31], 0 offen              // 0000000063F8: E0501000 80072A1E
	v_mfma_f32_16x16x32_fp8_fp8 v[12:15], a[124:125], a[84:85], v[12:15]// 000000006400: D3F3000C 1C32A97C
	v_mfma_f32_16x16x32_fp8_fp8 v[12:15], a[126:127], a[86:87], v[12:15]// 000000006408: D3F3000C 1C32AD7E
	buffer_load_dword v43, v31, s[28:31], 0 offen              // 000000006410: E0501000 80072B1F
	v_fma_f32 v84, v8, v4, v84                                 // 000000006418: D1CB0054 05520908
	v_fma_f32 v85, v9, v4, v85                                 // 000000006420: D1CB0055 05560909
	v_fma_f32 v86, v10, v4, v86                                // 000000006428: D1CB0056 055A090A
	v_fma_f32 v87, v11, v4, v87                                // 000000006430: D1CB0057 055E090B
	v_mul_f32_dpp v6, v26, v53 row_newbcast:0 row_mask:0xf bank_mask:0xf// 000000006438: 0A0C6AFA FF01501A
	v_mfma_f32_16x16x32_fp8_fp8 v[8:11], a[112:113], a[88:89], 0// 000000006440: D3F30008 1A02B170
	v_mfma_f32_16x16x32_fp8_fp8 v[8:11], a[114:115], a[90:91], v[8:11]// 000000006448: D3F30008 1C22B572
	buffer_load_dword v44, v32, s[28:31], 0 offen              // 000000006450: E0501000 80072C20
	v_mfma_f32_16x16x32_fp8_fp8 v[8:11], a[116:117], a[92:93], v[8:11]// 000000006458: D3F30008 1C22B974
	v_mfma_f32_16x16x32_fp8_fp8 v[8:11], a[118:119], a[94:95], v[8:11]// 000000006460: D3F30008 1C22BD76
	buffer_load_dword v45, v33, s[28:31], 0 offen              // 000000006468: E0501000 80072D21
	v_fma_f32 v108, v12, v4, v108                              // 000000006470: D1CB006C 05B2090C
	v_fma_f32 v109, v13, v4, v109                              // 000000006478: D1CB006D 05B6090D
	v_fma_f32 v110, v14, v4, v110                              // 000000006480: D1CB006E 05BA090E
	v_fma_f32 v111, v15, v4, v111                              // 000000006488: D1CB006F 05BE090F
	v_mfma_f32_16x16x32_fp8_fp8 v[12:15], a[120:121], a[88:89], 0// 000000006490: D3F3000C 1A02B178
	v_mfma_f32_16x16x32_fp8_fp8 v[12:15], a[122:123], a[90:91], v[12:15]// 000000006498: D3F3000C 1C32B57A
	buffer_load_dword v46, v34, s[28:31], 0 offen              // 0000000064A0: E0501000 80072E22
	v_mfma_f32_16x16x32_fp8_fp8 v[12:15], a[124:125], a[92:93], v[12:15]// 0000000064A8: D3F3000C 1C32B97C
	v_mfma_f32_16x16x32_fp8_fp8 v[12:15], a[126:127], a[94:95], v[12:15]// 0000000064B0: D3F3000C 1C32BD7E
	buffer_load_dword v47, v35, s[28:31], 0 offen              // 0000000064B8: E0501000 80072F23
	v_fma_f32 v88, v8, v6, v88                                 // 0000000064C0: D1CB0058 05620D08
	v_fma_f32 v89, v9, v6, v89                                 // 0000000064C8: D1CB0059 05660D09
	v_fma_f32 v90, v10, v6, v90                                // 0000000064D0: D1CB005A 056A0D0A
	v_fma_f32 v91, v11, v6, v91                                // 0000000064D8: D1CB005B 056E0D0B
	v_fma_f32 v112, v12, v6, v112                              // 0000000064E0: D1CB0070 05C20D0C
	v_fma_f32 v113, v13, v6, v113                              // 0000000064E8: D1CB0071 05C60D0D
	v_fma_f32 v114, v14, v6, v114                              // 0000000064F0: D1CB0072 05CA0D0E
	v_fma_f32 v115, v15, v6, v115                              // 0000000064F8: D1CB0073 05CE0D0F
	s_waitcnt vmcnt(23)                                        // 000000006500: BF8C4F77
	s_barrier                                                  // 000000006504: BF8A0000
	v_mul_f32_dpp v4, v29, v48 row_newbcast:0 row_mask:0xf bank_mask:0xf// 000000006508: 0A0860FA FF01501D
	v_mfma_f32_16x16x32_fp8_fp8 v[8:11], a[128:129], a[48:49], 0// 000000006510: D3F30008 1A026180
	buffer_load_dword v27, v23, s[32:35], 0 offen              // 000000006518: E0501000 80081B17
	v_mfma_f32_16x16x32_fp8_fp8 v[8:11], a[130:131], a[50:51], v[8:11]// 000000006520: D3F30008 1C226582
	buffer_load_dwordx4 a[112:115], v66, s[84:87], 0 offen     // 000000006528: E05C1000 80957042
	v_mfma_f32_16x16x32_fp8_fp8 v[8:11], a[132:133], a[52:53], v[8:11]// 000000006530: D3F30008 1C226984
	v_mfma_f32_16x16x32_fp8_fp8 v[8:11], a[134:135], a[54:55], v[8:11]// 000000006538: D3F30008 1C226D86
	ds_read_b128 a[0:3], v2                                    // 000000006540: DBFE0000 00000002
	ds_read_b128 a[4:7], v2 offset:64                          // 000000006548: DBFE0040 04000002
	v_mfma_f32_16x16x32_fp8_fp8 v[12:15], a[136:137], a[48:49], 0// 000000006550: D3F3000C 1A026188
	v_mfma_f32_16x16x32_fp8_fp8 v[12:15], a[138:139], a[50:51], v[12:15]// 000000006558: D3F3000C 1C32658A
	buffer_load_dwordx4 a[116:119], v66, s[84:87], 0 offen offset:1024// 000000006560: E05C1400 80957442
	v_mfma_f32_16x16x32_fp8_fp8 v[12:15], a[140:141], a[52:53], v[12:15]// 000000006568: D3F3000C 1C32698C
	v_mfma_f32_16x16x32_fp8_fp8 v[12:15], a[142:143], a[54:55], v[12:15]// 000000006570: D3F3000C 1C326D8E
	ds_read_b128 a[8:11], v2 offset:512                        // 000000006578: DBFE0200 08000002
	ds_read_b128 a[12:15], v2 offset:576                       // 000000006580: DBFE0240 0C000002
	v_fma_f32 v116, v8, v4, v116                               // 000000006588: D1CB0074 05D20908
	v_fma_f32 v117, v9, v4, v117                               // 000000006590: D1CB0075 05D60909
	v_fma_f32 v118, v10, v4, v118                              // 000000006598: D1CB0076 05DA090A
	v_fma_f32 v119, v11, v4, v119                              // 0000000065A0: D1CB0077 05DE090B
	v_mul_f32_dpp v6, v29, v49 row_newbcast:0 row_mask:0xf bank_mask:0xf// 0000000065A8: 0A0C62FA FF01501D
	v_mfma_f32_16x16x32_fp8_fp8 v[8:11], a[128:129], a[56:57], 0// 0000000065B0: D3F30008 1A027180
	v_mfma_f32_16x16x32_fp8_fp8 v[8:11], a[130:131], a[58:59], v[8:11]// 0000000065B8: D3F30008 1C227582
	buffer_load_dwordx4 a[120:123], v67, s[84:87], 0 offen     // 0000000065C0: E05C1000 80957843
	v_mfma_f32_16x16x32_fp8_fp8 v[8:11], a[132:133], a[60:61], v[8:11]// 0000000065C8: D3F30008 1C227984
	v_mfma_f32_16x16x32_fp8_fp8 v[8:11], a[134:135], a[62:63], v[8:11]// 0000000065D0: D3F30008 1C227D86
	ds_read_b128 a[16:19], v2 offset:1024                      // 0000000065D8: DBFE0400 10000002
	ds_read_b128 a[20:23], v2 offset:1088                      // 0000000065E0: DBFE0440 14000002
	v_fma_f32 v140, v12, v4, v140                              // 0000000065E8: D1CB008C 0632090C
	v_fma_f32 v141, v13, v4, v141                              // 0000000065F0: D1CB008D 0636090D
	v_fma_f32 v142, v14, v4, v142                              // 0000000065F8: D1CB008E 063A090E
	v_fma_f32 v143, v15, v4, v143                              // 000000006600: D1CB008F 063E090F
	v_mfma_f32_16x16x32_fp8_fp8 v[12:15], a[136:137], a[56:57], 0// 000000006608: D3F3000C 1A027188
	v_mfma_f32_16x16x32_fp8_fp8 v[12:15], a[138:139], a[58:59], v[12:15]// 000000006610: D3F3000C 1C32758A
	buffer_load_dwordx4 a[124:127], v67, s[84:87], 0 offen offset:1024// 000000006618: E05C1400 80957C43
	v_mfma_f32_16x16x32_fp8_fp8 v[12:15], a[140:141], a[60:61], v[12:15]// 000000006620: D3F3000C 1C32798C
	v_mfma_f32_16x16x32_fp8_fp8 v[12:15], a[142:143], a[62:63], v[12:15]// 000000006628: D3F3000C 1C327D8E
	ds_read_b128 a[24:27], v2 offset:1536                      // 000000006630: DBFE0600 18000002
	ds_read_b128 a[28:31], v2 offset:1600                      // 000000006638: DBFE0640 1C000002
	v_fma_f32 v120, v8, v6, v120                               // 000000006640: D1CB0078 05E20D08
	v_fma_f32 v121, v9, v6, v121                               // 000000006648: D1CB0079 05E60D09
	v_fma_f32 v122, v10, v6, v122                              // 000000006650: D1CB007A 05EA0D0A
	v_fma_f32 v123, v11, v6, v123                              // 000000006658: D1CB007B 05EE0D0B
	v_mul_f32_dpp v4, v29, v50 row_newbcast:0 row_mask:0xf bank_mask:0xf// 000000006660: 0A0864FA FF01501D
	v_mfma_f32_16x16x32_fp8_fp8 v[8:11], a[128:129], a[64:65], 0// 000000006668: D3F30008 1A028180
	v_mfma_f32_16x16x32_fp8_fp8 v[8:11], a[130:131], a[66:67], v[8:11]// 000000006670: D3F30008 1C228582
	v_mfma_f32_16x16x32_fp8_fp8 v[8:11], a[132:133], a[68:69], v[8:11]// 000000006678: D3F30008 1C228984
	v_mfma_f32_16x16x32_fp8_fp8 v[8:11], a[134:135], a[70:71], v[8:11]// 000000006680: D3F30008 1C228D86
	ds_read_b128 a[32:35], v2 offset:2048                      // 000000006688: DBFE0800 20000002
	ds_read_b128 a[36:39], v2 offset:2112                      // 000000006690: DBFE0840 24000002
	v_fma_f32 v144, v12, v6, v144                              // 000000006698: D1CB0090 06420D0C
	v_fma_f32 v145, v13, v6, v145                              // 0000000066A0: D1CB0091 06460D0D
	v_fma_f32 v146, v14, v6, v146                              // 0000000066A8: D1CB0092 064A0D0E
	v_fma_f32 v147, v15, v6, v147                              // 0000000066B0: D1CB0093 064E0D0F
	v_mfma_f32_16x16x32_fp8_fp8 v[12:15], a[136:137], a[64:65], 0// 0000000066B8: D3F3000C 1A028188
	v_mfma_f32_16x16x32_fp8_fp8 v[12:15], a[138:139], a[66:67], v[12:15]// 0000000066C0: D3F3000C 1C32858A
	v_mfma_f32_16x16x32_fp8_fp8 v[12:15], a[140:141], a[68:69], v[12:15]// 0000000066C8: D3F3000C 1C32898C
	v_mfma_f32_16x16x32_fp8_fp8 v[12:15], a[142:143], a[70:71], v[12:15]// 0000000066D0: D3F3000C 1C328D8E
	ds_read_b128 a[40:43], v2 offset:2560                      // 0000000066D8: DBFE0A00 28000002
	ds_read_b128 a[44:47], v2 offset:2624                      // 0000000066E0: DBFE0A40 2C000002
	v_fma_f32 v124, v8, v4, v124                               // 0000000066E8: D1CB007C 05F20908
	v_fma_f32 v125, v9, v4, v125                               // 0000000066F0: D1CB007D 05F60909
	v_fma_f32 v126, v10, v4, v126                              // 0000000066F8: D1CB007E 05FA090A
	v_fma_f32 v127, v11, v4, v127                              // 000000006700: D1CB007F 05FE090B
	v_mul_f32_dpp v6, v29, v51 row_newbcast:0 row_mask:0xf bank_mask:0xf// 000000006708: 0A0C66FA FF01501D
	v_mfma_f32_16x16x32_fp8_fp8 v[8:11], a[128:129], a[72:73], 0// 000000006710: D3F30008 1A029180
	v_mfma_f32_16x16x32_fp8_fp8 v[8:11], a[130:131], a[74:75], v[8:11]// 000000006718: D3F30008 1C229582
	v_mfma_f32_16x16x32_fp8_fp8 v[8:11], a[132:133], a[76:77], v[8:11]// 000000006720: D3F30008 1C229984
	v_mfma_f32_16x16x32_fp8_fp8 v[8:11], a[134:135], a[78:79], v[8:11]// 000000006728: D3F30008 1C229D86
	v_fma_f32 v148, v12, v4, v148                              // 000000006730: D1CB0094 0652090C
	v_fma_f32 v149, v13, v4, v149                              // 000000006738: D1CB0095 0656090D
	v_fma_f32 v150, v14, v4, v150                              // 000000006740: D1CB0096 065A090E
	v_fma_f32 v151, v15, v4, v151                              // 000000006748: D1CB0097 065E090F
	v_mfma_f32_16x16x32_fp8_fp8 v[12:15], a[136:137], a[72:73], 0// 000000006750: D3F3000C 1A029188
	v_mfma_f32_16x16x32_fp8_fp8 v[12:15], a[138:139], a[74:75], v[12:15]// 000000006758: D3F3000C 1C32958A
	v_mfma_f32_16x16x32_fp8_fp8 v[12:15], a[140:141], a[76:77], v[12:15]// 000000006760: D3F3000C 1C32998C
	v_mfma_f32_16x16x32_fp8_fp8 v[12:15], a[142:143], a[78:79], v[12:15]// 000000006768: D3F3000C 1C329D8E
	v_fma_f32 v128, v8, v6, v128                               // 000000006770: D1CB0080 06020D08
	v_fma_f32 v129, v9, v6, v129                               // 000000006778: D1CB0081 06060D09
	v_fma_f32 v130, v10, v6, v130                              // 000000006780: D1CB0082 060A0D0A
	v_fma_f32 v131, v11, v6, v131                              // 000000006788: D1CB0083 060E0D0B
	v_mul_f32_dpp v4, v29, v52 row_newbcast:0 row_mask:0xf bank_mask:0xf// 000000006790: 0A0868FA FF01501D
	v_mfma_f32_16x16x32_fp8_fp8 v[8:11], a[128:129], a[80:81], 0// 000000006798: D3F30008 1A02A180
	v_mfma_f32_16x16x32_fp8_fp8 v[8:11], a[130:131], a[82:83], v[8:11]// 0000000067A0: D3F30008 1C22A582
	v_mfma_f32_16x16x32_fp8_fp8 v[8:11], a[132:133], a[84:85], v[8:11]// 0000000067A8: D3F30008 1C22A984
	v_mfma_f32_16x16x32_fp8_fp8 v[8:11], a[134:135], a[86:87], v[8:11]// 0000000067B0: D3F30008 1C22AD86
	v_fma_f32 v152, v12, v6, v152                              // 0000000067B8: D1CB0098 06620D0C
	v_fma_f32 v153, v13, v6, v153                              // 0000000067C0: D1CB0099 06660D0D
	v_fma_f32 v154, v14, v6, v154                              // 0000000067C8: D1CB009A 066A0D0E
	v_fma_f32 v155, v15, v6, v155                              // 0000000067D0: D1CB009B 066E0D0F
	v_mfma_f32_16x16x32_fp8_fp8 v[12:15], a[136:137], a[80:81], 0// 0000000067D8: D3F3000C 1A02A188
	v_mfma_f32_16x16x32_fp8_fp8 v[12:15], a[138:139], a[82:83], v[12:15]// 0000000067E0: D3F3000C 1C32A58A
	v_mfma_f32_16x16x32_fp8_fp8 v[12:15], a[140:141], a[84:85], v[12:15]// 0000000067E8: D3F3000C 1C32A98C
	v_mfma_f32_16x16x32_fp8_fp8 v[12:15], a[142:143], a[86:87], v[12:15]// 0000000067F0: D3F3000C 1C32AD8E
	v_fma_f32 v132, v8, v4, v132                               // 0000000067F8: D1CB0084 06120908
	v_fma_f32 v133, v9, v4, v133                               // 000000006800: D1CB0085 06160909
	v_fma_f32 v134, v10, v4, v134                              // 000000006808: D1CB0086 061A090A
	v_fma_f32 v135, v11, v4, v135                              // 000000006810: D1CB0087 061E090B
	v_mul_f32_dpp v6, v29, v53 row_newbcast:0 row_mask:0xf bank_mask:0xf// 000000006818: 0A0C6AFA FF01501D
	v_mfma_f32_16x16x32_fp8_fp8 v[8:11], a[128:129], a[88:89], 0// 000000006820: D3F30008 1A02B180
	s_add_u32 s60, 0x180, s80                                  // 000000006828: 803C50FF 00000180
	s_cmp_lt_u32 s60, s81                                      // 000000006830: BF0A513C
	s_cselect_b32 s57, s57, 0                                  // 000000006834: 85398039
	s_cselect_b32 s3, s3, 0                                    // 000000006838: 85038003
	v_mfma_f32_16x16x32_fp8_fp8 v[8:11], a[130:131], a[90:91], v[8:11]// 00000000683C: D3F30008 1C22B582
	s_add_u32 s60, 0x100, s80                                  // 000000006844: 803C50FF 00000100
	s_cmp_lt_u32 s60, s81                                      // 00000000684C: BF0A513C
	s_cselect_b32 s58, s58, 0                                  // 000000006850: 853A803A
	v_mfma_f32_16x16x32_fp8_fp8 v[8:11], a[132:133], a[92:93], v[8:11]// 000000006854: D3F30008 1C22B984
	s_add_u32 s60, 0x100, s80                                  // 00000000685C: 803C50FF 00000100
	s_cmp_lt_u32 s60, s81                                      // 000000006864: BF0A513C
	s_cselect_b32 s83, s83, 0                                  // 000000006868: 85538053
	s_cselect_b32 s4, s4, 0                                    // 00000000686C: 85048004
	v_mfma_f32_16x16x32_fp8_fp8 v[8:11], a[134:135], a[94:95], v[8:11]// 000000006870: D3F30008 1C22BD86
	s_add_u32 s24, s58, s24                                    // 000000006878: 8018183A
	s_addc_u32 s25, 0, s25                                     // 00000000687C: 82191980
	v_fma_f32 v156, v12, v4, v156                              // 000000006880: D1CB009C 0672090C
	v_fma_f32 v157, v13, v4, v157                              // 000000006888: D1CB009D 0676090D
	v_fma_f32 v158, v14, v4, v158                              // 000000006890: D1CB009E 067A090E
	v_fma_f32 v159, v15, v4, v159                              // 000000006898: D1CB009F 067E090F
	v_mfma_f32_16x16x32_fp8_fp8 v[12:15], a[136:137], a[88:89], 0// 0000000068A0: D3F3000C 1A02B188
	s_add_u32 s20, s57, s20                                    // 0000000068A8: 80141439
	s_addc_u32 s21, 0, s21                                     // 0000000068AC: 82151580
	s_add_u32 s28, s3, s28                                     // 0000000068B0: 801C1C03
	s_addc_u32 s29, 0, s29                                     // 0000000068B4: 821D1D80
	v_mfma_f32_16x16x32_fp8_fp8 v[12:15], a[138:139], a[90:91], v[12:15]// 0000000068B8: D3F3000C 1C32B58A
	s_add_u32 s84, s83, s84                                    // 0000000068C0: 80545453
	s_addc_u32 s85, 0, s85                                     // 0000000068C4: 82555580
	v_mfma_f32_16x16x32_fp8_fp8 v[12:15], a[140:141], a[92:93], v[12:15]// 0000000068C8: D3F3000C 1C32B98C
	s_add_u32 s32, s4, s32                                     // 0000000068D0: 80202004
	s_addc_u32 s33, 0, s33                                     // 0000000068D4: 82212180
	v_mfma_f32_16x16x32_fp8_fp8 v[12:15], a[142:143], a[94:95], v[12:15]// 0000000068D8: D3F3000C 1C32BD8E
	v_fma_f32 v136, v8, v6, v136                               // 0000000068E0: D1CB0088 06220D08
	v_fma_f32 v137, v9, v6, v137                               // 0000000068E8: D1CB0089 06260D09
	v_fma_f32 v138, v10, v6, v138                              // 0000000068F0: D1CB008A 062A0D0A
	v_fma_f32 v139, v11, v6, v139                              // 0000000068F8: D1CB008B 062E0D0B
	v_fma_f32 v160, v12, v6, v160                              // 000000006900: D1CB00A0 06820D0C
	v_fma_f32 v161, v13, v6, v161                              // 000000006908: D1CB00A1 06860D0D
	v_fma_f32 v162, v14, v6, v162                              // 000000006910: D1CB00A2 068A0D0E
	v_fma_f32 v163, v15, v6, v163                              // 000000006918: D1CB00A3 068E0D0F
	s_addk_i32 s80, 0x80                                       // 000000006920: B7500080
	s_cmp_lt_i32 s80, s81                                      // 000000006924: BF045150
	s_cbranch_scc0 label_0FCC                                  // 000000006928: BF840001
	s_branch label_031D                                        // 00000000692C: BF82F351

0000000000006930 <label_0FCC>:
	s_cmp_eq_u32 s88, 0                                        // 000000006930: BF068058
	s_cbranch_scc0 label_17E7                                  // 000000006934: BF840819
	s_cmp_eq_u32 s89, 0                                        // 000000006938: BF068059
	s_cbranch_scc1 label_11B5                                  // 00000000693C: BF8501E5
	v_mov_b32_e32 v8, v1                                       // 000000006940: 7E100301
	v_mov_b32_e32 v9, v1                                       // 000000006944: 7E120301
	s_mov_b32 s60, s6                                          // 000000006948: BEBC0006
	s_mov_b32 s61, s6                                          // 00000000694C: BEBD0006
	v_pk_mul_f32 v[4:5], v[68:69], v[68:69]                    // 000000006950: D3B14004 18028944
	v_pk_mul_f32 v[6:7], v[70:71], v[70:71]                    // 000000006958: D3B14006 18028D46
	v_pk_fma_f32 v[4:5], v[4:5], s[78:79], v[8:9]              // 000000006960: D3B04004 1C209D04
	v_pk_fma_f32 v[6:7], v[6:7], s[78:79], v[8:9]              // 000000006968: D3B04006 1C209D06
	v_pk_mul_f32 v[4:5], v[4:5], v[68:69]                      // 000000006970: D3B14004 18028904
	v_pk_mul_f32 v[6:7], v[6:7], v[70:71]                      // 000000006978: D3B14006 18028D06
	v_pk_mul_f32 v[4:5], v[4:5], s[60:61]                      // 000000006980: D3B14004 18007904
	v_pk_mul_f32 v[6:7], v[6:7], s[60:61]                      // 000000006988: D3B14006 18007906
	v_exp_f32_e32 v4, v4                                       // 000000006990: 7E084104
	v_exp_f32_e32 v5, v5                                       // 000000006994: 7E0A4105
	v_exp_f32_e32 v6, v6                                       // 000000006998: 7E0C4106
	v_exp_f32_e32 v7, v7                                       // 00000000699C: 7E0E4107
	v_add_f32_e64 v4, v4, 1.0                                  // 0000000069A0: D1010004 0001E504
	v_add_f32_e64 v5, v5, 1.0                                  // 0000000069A8: D1010005 0001E505
	v_add_f32_e64 v6, v6, 1.0                                  // 0000000069B0: D1010006 0001E506
	v_add_f32_e64 v7, v7, 1.0                                  // 0000000069B8: D1010007 0001E507
	v_rcp_f32_e32 v4, v4                                       // 0000000069C0: 7E084504
	v_rcp_f32_e32 v5, v5                                       // 0000000069C4: 7E0A4505
	v_rcp_f32_e32 v6, v6                                       // 0000000069C8: 7E0C4506
	v_rcp_f32_e32 v7, v7                                       // 0000000069CC: 7E0E4507
	v_mul_f32_e32 v68, v68, v4                                 // 0000000069D0: 0A880944
	v_mul_f32_e32 v69, v69, v5                                 // 0000000069D4: 0A8A0B45
	v_mul_f32_e32 v70, v70, v6                                 // 0000000069D8: 0A8C0D46
	v_mul_f32_e32 v71, v71, v7                                 // 0000000069DC: 0A8E0F47
	v_mul_f32_e32 v68, v68, v116                               // 0000000069E0: 0A88E944
	v_mul_f32_e32 v69, v69, v117                               // 0000000069E4: 0A8AEB45
	v_mul_f32_e32 v70, v70, v118                               // 0000000069E8: 0A8CED46
	v_mul_f32_e32 v71, v71, v119                               // 0000000069EC: 0A8EEF47
	v_pk_mul_f32 v[4:5], v[72:73], v[72:73]                    // 0000000069F0: D3B14004 18029148
	v_pk_mul_f32 v[6:7], v[74:75], v[74:75]                    // 0000000069F8: D3B14006 1802954A
	v_pk_fma_f32 v[4:5], v[4:5], s[78:79], v[8:9]              // 000000006A00: D3B04004 1C209D04
	v_pk_fma_f32 v[6:7], v[6:7], s[78:79], v[8:9]              // 000000006A08: D3B04006 1C209D06
	v_pk_mul_f32 v[4:5], v[4:5], v[72:73]                      // 000000006A10: D3B14004 18029104
	v_pk_mul_f32 v[6:7], v[6:7], v[74:75]                      // 000000006A18: D3B14006 18029506
	v_pk_mul_f32 v[4:5], v[4:5], s[60:61]                      // 000000006A20: D3B14004 18007904
	v_pk_mul_f32 v[6:7], v[6:7], s[60:61]                      // 000000006A28: D3B14006 18007906
	v_exp_f32_e32 v4, v4                                       // 000000006A30: 7E084104
	v_exp_f32_e32 v5, v5                                       // 000000006A34: 7E0A4105
	v_exp_f32_e32 v6, v6                                       // 000000006A38: 7E0C4106
	v_exp_f32_e32 v7, v7                                       // 000000006A3C: 7E0E4107
	v_add_f32_e64 v4, v4, 1.0                                  // 000000006A40: D1010004 0001E504
	v_add_f32_e64 v5, v5, 1.0                                  // 000000006A48: D1010005 0001E505
	v_add_f32_e64 v6, v6, 1.0                                  // 000000006A50: D1010006 0001E506
	v_add_f32_e64 v7, v7, 1.0                                  // 000000006A58: D1010007 0001E507
	v_rcp_f32_e32 v4, v4                                       // 000000006A60: 7E084504
	v_rcp_f32_e32 v5, v5                                       // 000000006A64: 7E0A4505
	v_rcp_f32_e32 v6, v6                                       // 000000006A68: 7E0C4506
	v_rcp_f32_e32 v7, v7                                       // 000000006A6C: 7E0E4507
	v_mul_f32_e32 v72, v72, v4                                 // 000000006A70: 0A900948
	v_mul_f32_e32 v73, v73, v5                                 // 000000006A74: 0A920B49
	v_mul_f32_e32 v74, v74, v6                                 // 000000006A78: 0A940D4A
	v_mul_f32_e32 v75, v75, v7                                 // 000000006A7C: 0A960F4B
	v_mul_f32_e32 v72, v72, v120                               // 000000006A80: 0A90F148
	v_mul_f32_e32 v73, v73, v121                               // 000000006A84: 0A92F349
	v_mul_f32_e32 v74, v74, v122                               // 000000006A88: 0A94F54A
	v_mul_f32_e32 v75, v75, v123                               // 000000006A8C: 0A96F74B
	v_pk_mul_f32 v[4:5], v[76:77], v[76:77]                    // 000000006A90: D3B14004 1802994C
	v_pk_mul_f32 v[6:7], v[78:79], v[78:79]                    // 000000006A98: D3B14006 18029D4E
	v_pk_fma_f32 v[4:5], v[4:5], s[78:79], v[8:9]              // 000000006AA0: D3B04004 1C209D04
	v_pk_fma_f32 v[6:7], v[6:7], s[78:79], v[8:9]              // 000000006AA8: D3B04006 1C209D06
	v_pk_mul_f32 v[4:5], v[4:5], v[76:77]                      // 000000006AB0: D3B14004 18029904
	v_pk_mul_f32 v[6:7], v[6:7], v[78:79]                      // 000000006AB8: D3B14006 18029D06
	v_pk_mul_f32 v[4:5], v[4:5], s[60:61]                      // 000000006AC0: D3B14004 18007904
	v_pk_mul_f32 v[6:7], v[6:7], s[60:61]                      // 000000006AC8: D3B14006 18007906
	v_exp_f32_e32 v4, v4                                       // 000000006AD0: 7E084104
	v_exp_f32_e32 v5, v5                                       // 000000006AD4: 7E0A4105
	v_exp_f32_e32 v6, v6                                       // 000000006AD8: 7E0C4106
	v_exp_f32_e32 v7, v7                                       // 000000006ADC: 7E0E4107
	v_add_f32_e64 v4, v4, 1.0                                  // 000000006AE0: D1010004 0001E504
	v_add_f32_e64 v5, v5, 1.0                                  // 000000006AE8: D1010005 0001E505
	v_add_f32_e64 v6, v6, 1.0                                  // 000000006AF0: D1010006 0001E506
	v_add_f32_e64 v7, v7, 1.0                                  // 000000006AF8: D1010007 0001E507
	v_rcp_f32_e32 v4, v4                                       // 000000006B00: 7E084504
	v_rcp_f32_e32 v5, v5                                       // 000000006B04: 7E0A4505
	v_rcp_f32_e32 v6, v6                                       // 000000006B08: 7E0C4506
	v_rcp_f32_e32 v7, v7                                       // 000000006B0C: 7E0E4507
	v_mul_f32_e32 v76, v76, v4                                 // 000000006B10: 0A98094C
	v_mul_f32_e32 v77, v77, v5                                 // 000000006B14: 0A9A0B4D
	v_mul_f32_e32 v78, v78, v6                                 // 000000006B18: 0A9C0D4E
	v_mul_f32_e32 v79, v79, v7                                 // 000000006B1C: 0A9E0F4F
	v_mul_f32_e32 v76, v76, v124                               // 000000006B20: 0A98F94C
	v_mul_f32_e32 v77, v77, v125                               // 000000006B24: 0A9AFB4D
	v_mul_f32_e32 v78, v78, v126                               // 000000006B28: 0A9CFD4E
	v_mul_f32_e32 v79, v79, v127                               // 000000006B2C: 0A9EFF4F
	v_pk_mul_f32 v[4:5], v[80:81], v[80:81]                    // 000000006B30: D3B14004 1802A150
	v_pk_mul_f32 v[6:7], v[82:83], v[82:83]                    // 000000006B38: D3B14006 1802A552
	v_pk_fma_f32 v[4:5], v[4:5], s[78:79], v[8:9]              // 000000006B40: D3B04004 1C209D04
	v_pk_fma_f32 v[6:7], v[6:7], s[78:79], v[8:9]              // 000000006B48: D3B04006 1C209D06
	v_pk_mul_f32 v[4:5], v[4:5], v[80:81]                      // 000000006B50: D3B14004 1802A104
	v_pk_mul_f32 v[6:7], v[6:7], v[82:83]                      // 000000006B58: D3B14006 1802A506
	v_pk_mul_f32 v[4:5], v[4:5], s[60:61]                      // 000000006B60: D3B14004 18007904
	v_pk_mul_f32 v[6:7], v[6:7], s[60:61]                      // 000000006B68: D3B14006 18007906
	v_exp_f32_e32 v4, v4                                       // 000000006B70: 7E084104
	v_exp_f32_e32 v5, v5                                       // 000000006B74: 7E0A4105
	v_exp_f32_e32 v6, v6                                       // 000000006B78: 7E0C4106
	v_exp_f32_e32 v7, v7                                       // 000000006B7C: 7E0E4107
	v_add_f32_e64 v4, v4, 1.0                                  // 000000006B80: D1010004 0001E504
	v_add_f32_e64 v5, v5, 1.0                                  // 000000006B88: D1010005 0001E505
	v_add_f32_e64 v6, v6, 1.0                                  // 000000006B90: D1010006 0001E506
	v_add_f32_e64 v7, v7, 1.0                                  // 000000006B98: D1010007 0001E507
	v_rcp_f32_e32 v4, v4                                       // 000000006BA0: 7E084504
	v_rcp_f32_e32 v5, v5                                       // 000000006BA4: 7E0A4505
	v_rcp_f32_e32 v6, v6                                       // 000000006BA8: 7E0C4506
	v_rcp_f32_e32 v7, v7                                       // 000000006BAC: 7E0E4507
	v_mul_f32_e32 v80, v80, v4                                 // 000000006BB0: 0AA00950
	v_mul_f32_e32 v81, v81, v5                                 // 000000006BB4: 0AA20B51
	v_mul_f32_e32 v82, v82, v6                                 // 000000006BB8: 0AA40D52
	v_mul_f32_e32 v83, v83, v7                                 // 000000006BBC: 0AA60F53
	v_mul_f32_e32 v80, v80, v128                               // 000000006BC0: 0AA10150
	v_mul_f32_e32 v81, v81, v129                               // 000000006BC4: 0AA30351
	v_mul_f32_e32 v82, v82, v130                               // 000000006BC8: 0AA50552
	v_mul_f32_e32 v83, v83, v131                               // 000000006BCC: 0AA70753
	v_pk_mul_f32 v[4:5], v[84:85], v[84:85]                    // 000000006BD0: D3B14004 1802A954
	v_pk_mul_f32 v[6:7], v[86:87], v[86:87]                    // 000000006BD8: D3B14006 1802AD56
	v_pk_fma_f32 v[4:5], v[4:5], s[78:79], v[8:9]              // 000000006BE0: D3B04004 1C209D04
	v_pk_fma_f32 v[6:7], v[6:7], s[78:79], v[8:9]              // 000000006BE8: D3B04006 1C209D06
	v_pk_mul_f32 v[4:5], v[4:5], v[84:85]                      // 000000006BF0: D3B14004 1802A904
	v_pk_mul_f32 v[6:7], v[6:7], v[86:87]                      // 000000006BF8: D3B14006 1802AD06
	v_pk_mul_f32 v[4:5], v[4:5], s[60:61]                      // 000000006C00: D3B14004 18007904
	v_pk_mul_f32 v[6:7], v[6:7], s[60:61]                      // 000000006C08: D3B14006 18007906
	v_exp_f32_e32 v4, v4                                       // 000000006C10: 7E084104
	v_exp_f32_e32 v5, v5                                       // 000000006C14: 7E0A4105
	v_exp_f32_e32 v6, v6                                       // 000000006C18: 7E0C4106
	v_exp_f32_e32 v7, v7                                       // 000000006C1C: 7E0E4107
	v_add_f32_e64 v4, v4, 1.0                                  // 000000006C20: D1010004 0001E504
	v_add_f32_e64 v5, v5, 1.0                                  // 000000006C28: D1010005 0001E505
	v_add_f32_e64 v6, v6, 1.0                                  // 000000006C30: D1010006 0001E506
	v_add_f32_e64 v7, v7, 1.0                                  // 000000006C38: D1010007 0001E507
	v_rcp_f32_e32 v4, v4                                       // 000000006C40: 7E084504
	v_rcp_f32_e32 v5, v5                                       // 000000006C44: 7E0A4505
	v_rcp_f32_e32 v6, v6                                       // 000000006C48: 7E0C4506
	v_rcp_f32_e32 v7, v7                                       // 000000006C4C: 7E0E4507
	v_mul_f32_e32 v84, v84, v4                                 // 000000006C50: 0AA80954
	v_mul_f32_e32 v85, v85, v5                                 // 000000006C54: 0AAA0B55
	v_mul_f32_e32 v86, v86, v6                                 // 000000006C58: 0AAC0D56
	v_mul_f32_e32 v87, v87, v7                                 // 000000006C5C: 0AAE0F57
	v_mul_f32_e32 v84, v84, v132                               // 000000006C60: 0AA90954
	v_mul_f32_e32 v85, v85, v133                               // 000000006C64: 0AAB0B55
	v_mul_f32_e32 v86, v86, v134                               // 000000006C68: 0AAD0D56
	v_mul_f32_e32 v87, v87, v135                               // 000000006C6C: 0AAF0F57
	v_pk_mul_f32 v[4:5], v[88:89], v[88:89]                    // 000000006C70: D3B14004 1802B158
	v_pk_mul_f32 v[6:7], v[90:91], v[90:91]                    // 000000006C78: D3B14006 1802B55A
	v_pk_fma_f32 v[4:5], v[4:5], s[78:79], v[8:9]              // 000000006C80: D3B04004 1C209D04
	v_pk_fma_f32 v[6:7], v[6:7], s[78:79], v[8:9]              // 000000006C88: D3B04006 1C209D06
	v_pk_mul_f32 v[4:5], v[4:5], v[88:89]                      // 000000006C90: D3B14004 1802B104
	v_pk_mul_f32 v[6:7], v[6:7], v[90:91]                      // 000000006C98: D3B14006 1802B506
	v_pk_mul_f32 v[4:5], v[4:5], s[60:61]                      // 000000006CA0: D3B14004 18007904
	v_pk_mul_f32 v[6:7], v[6:7], s[60:61]                      // 000000006CA8: D3B14006 18007906
	v_exp_f32_e32 v4, v4                                       // 000000006CB0: 7E084104
	v_exp_f32_e32 v5, v5                                       // 000000006CB4: 7E0A4105
	v_exp_f32_e32 v6, v6                                       // 000000006CB8: 7E0C4106
	v_exp_f32_e32 v7, v7                                       // 000000006CBC: 7E0E4107
	v_add_f32_e64 v4, v4, 1.0                                  // 000000006CC0: D1010004 0001E504
	v_add_f32_e64 v5, v5, 1.0                                  // 000000006CC8: D1010005 0001E505
	v_add_f32_e64 v6, v6, 1.0                                  // 000000006CD0: D1010006 0001E506
	v_add_f32_e64 v7, v7, 1.0                                  // 000000006CD8: D1010007 0001E507
	v_rcp_f32_e32 v4, v4                                       // 000000006CE0: 7E084504
	v_rcp_f32_e32 v5, v5                                       // 000000006CE4: 7E0A4505
	v_rcp_f32_e32 v6, v6                                       // 000000006CE8: 7E0C4506
	v_rcp_f32_e32 v7, v7                                       // 000000006CEC: 7E0E4507
	v_mul_f32_e32 v88, v88, v4                                 // 000000006CF0: 0AB00958
	v_mul_f32_e32 v89, v89, v5                                 // 000000006CF4: 0AB20B59
	v_mul_f32_e32 v90, v90, v6                                 // 000000006CF8: 0AB40D5A
	v_mul_f32_e32 v91, v91, v7                                 // 000000006CFC: 0AB60F5B
	v_mul_f32_e32 v88, v88, v136                               // 000000006D00: 0AB11158
	v_mul_f32_e32 v89, v89, v137                               // 000000006D04: 0AB31359
	v_mul_f32_e32 v90, v90, v138                               // 000000006D08: 0AB5155A
	v_mul_f32_e32 v91, v91, v139                               // 000000006D0C: 0AB7175B
	v_pk_mul_f32 v[4:5], v[92:93], v[92:93]                    // 000000006D10: D3B14004 1802B95C
	v_pk_mul_f32 v[6:7], v[94:95], v[94:95]                    // 000000006D18: D3B14006 1802BD5E
	v_pk_fma_f32 v[4:5], v[4:5], s[78:79], v[8:9]              // 000000006D20: D3B04004 1C209D04
	v_pk_fma_f32 v[6:7], v[6:7], s[78:79], v[8:9]              // 000000006D28: D3B04006 1C209D06
	v_pk_mul_f32 v[4:5], v[4:5], v[92:93]                      // 000000006D30: D3B14004 1802B904
	v_pk_mul_f32 v[6:7], v[6:7], v[94:95]                      // 000000006D38: D3B14006 1802BD06
	v_pk_mul_f32 v[4:5], v[4:5], s[60:61]                      // 000000006D40: D3B14004 18007904
	v_pk_mul_f32 v[6:7], v[6:7], s[60:61]                      // 000000006D48: D3B14006 18007906
	v_exp_f32_e32 v4, v4                                       // 000000006D50: 7E084104
	v_exp_f32_e32 v5, v5                                       // 000000006D54: 7E0A4105
	v_exp_f32_e32 v6, v6                                       // 000000006D58: 7E0C4106
	v_exp_f32_e32 v7, v7                                       // 000000006D5C: 7E0E4107
	v_add_f32_e64 v4, v4, 1.0                                  // 000000006D60: D1010004 0001E504
	v_add_f32_e64 v5, v5, 1.0                                  // 000000006D68: D1010005 0001E505
	v_add_f32_e64 v6, v6, 1.0                                  // 000000006D70: D1010006 0001E506
	v_add_f32_e64 v7, v7, 1.0                                  // 000000006D78: D1010007 0001E507
	v_rcp_f32_e32 v4, v4                                       // 000000006D80: 7E084504
	v_rcp_f32_e32 v5, v5                                       // 000000006D84: 7E0A4505
	v_rcp_f32_e32 v6, v6                                       // 000000006D88: 7E0C4506
	v_rcp_f32_e32 v7, v7                                       // 000000006D8C: 7E0E4507
	v_mul_f32_e32 v92, v92, v4                                 // 000000006D90: 0AB8095C
	v_mul_f32_e32 v93, v93, v5                                 // 000000006D94: 0ABA0B5D
	v_mul_f32_e32 v94, v94, v6                                 // 000000006D98: 0ABC0D5E
	v_mul_f32_e32 v95, v95, v7                                 // 000000006D9C: 0ABE0F5F
	v_mul_f32_e32 v92, v92, v140                               // 000000006DA0: 0AB9195C
	v_mul_f32_e32 v93, v93, v141                               // 000000006DA4: 0ABB1B5D
	v_mul_f32_e32 v94, v94, v142                               // 000000006DA8: 0ABD1D5E
	v_mul_f32_e32 v95, v95, v143                               // 000000006DAC: 0ABF1F5F
	v_pk_mul_f32 v[4:5], v[96:97], v[96:97]                    // 000000006DB0: D3B14004 1802C160
	v_pk_mul_f32 v[6:7], v[98:99], v[98:99]                    // 000000006DB8: D3B14006 1802C562
	v_pk_fma_f32 v[4:5], v[4:5], s[78:79], v[8:9]              // 000000006DC0: D3B04004 1C209D04
	v_pk_fma_f32 v[6:7], v[6:7], s[78:79], v[8:9]              // 000000006DC8: D3B04006 1C209D06
	v_pk_mul_f32 v[4:5], v[4:5], v[96:97]                      // 000000006DD0: D3B14004 1802C104
	v_pk_mul_f32 v[6:7], v[6:7], v[98:99]                      // 000000006DD8: D3B14006 1802C506
	v_pk_mul_f32 v[4:5], v[4:5], s[60:61]                      // 000000006DE0: D3B14004 18007904
	v_pk_mul_f32 v[6:7], v[6:7], s[60:61]                      // 000000006DE8: D3B14006 18007906
	v_exp_f32_e32 v4, v4                                       // 000000006DF0: 7E084104
	v_exp_f32_e32 v5, v5                                       // 000000006DF4: 7E0A4105
	v_exp_f32_e32 v6, v6                                       // 000000006DF8: 7E0C4106
	v_exp_f32_e32 v7, v7                                       // 000000006DFC: 7E0E4107
	v_add_f32_e64 v4, v4, 1.0                                  // 000000006E00: D1010004 0001E504
	v_add_f32_e64 v5, v5, 1.0                                  // 000000006E08: D1010005 0001E505
	v_add_f32_e64 v6, v6, 1.0                                  // 000000006E10: D1010006 0001E506
	v_add_f32_e64 v7, v7, 1.0                                  // 000000006E18: D1010007 0001E507
	v_rcp_f32_e32 v4, v4                                       // 000000006E20: 7E084504
	v_rcp_f32_e32 v5, v5                                       // 000000006E24: 7E0A4505
	v_rcp_f32_e32 v6, v6                                       // 000000006E28: 7E0C4506
	v_rcp_f32_e32 v7, v7                                       // 000000006E2C: 7E0E4507
	v_mul_f32_e32 v96, v96, v4                                 // 000000006E30: 0AC00960
	v_mul_f32_e32 v97, v97, v5                                 // 000000006E34: 0AC20B61
	v_mul_f32_e32 v98, v98, v6                                 // 000000006E38: 0AC40D62
	v_mul_f32_e32 v99, v99, v7                                 // 000000006E3C: 0AC60F63
	v_mul_f32_e32 v96, v96, v144                               // 000000006E40: 0AC12160
	v_mul_f32_e32 v97, v97, v145                               // 000000006E44: 0AC32361
	v_mul_f32_e32 v98, v98, v146                               // 000000006E48: 0AC52562
	v_mul_f32_e32 v99, v99, v147                               // 000000006E4C: 0AC72763
	v_pk_mul_f32 v[4:5], v[100:101], v[100:101]                // 000000006E50: D3B14004 1802C964
	v_pk_mul_f32 v[6:7], v[102:103], v[102:103]                // 000000006E58: D3B14006 1802CD66
	v_pk_fma_f32 v[4:5], v[4:5], s[78:79], v[8:9]              // 000000006E60: D3B04004 1C209D04
	v_pk_fma_f32 v[6:7], v[6:7], s[78:79], v[8:9]              // 000000006E68: D3B04006 1C209D06
	v_pk_mul_f32 v[4:5], v[4:5], v[100:101]                    // 000000006E70: D3B14004 1802C904
	v_pk_mul_f32 v[6:7], v[6:7], v[102:103]                    // 000000006E78: D3B14006 1802CD06
	v_pk_mul_f32 v[4:5], v[4:5], s[60:61]                      // 000000006E80: D3B14004 18007904
	v_pk_mul_f32 v[6:7], v[6:7], s[60:61]                      // 000000006E88: D3B14006 18007906
	v_exp_f32_e32 v4, v4                                       // 000000006E90: 7E084104
	v_exp_f32_e32 v5, v5                                       // 000000006E94: 7E0A4105
	v_exp_f32_e32 v6, v6                                       // 000000006E98: 7E0C4106
	v_exp_f32_e32 v7, v7                                       // 000000006E9C: 7E0E4107
	v_add_f32_e64 v4, v4, 1.0                                  // 000000006EA0: D1010004 0001E504
	v_add_f32_e64 v5, v5, 1.0                                  // 000000006EA8: D1010005 0001E505
	v_add_f32_e64 v6, v6, 1.0                                  // 000000006EB0: D1010006 0001E506
	v_add_f32_e64 v7, v7, 1.0                                  // 000000006EB8: D1010007 0001E507
	v_rcp_f32_e32 v4, v4                                       // 000000006EC0: 7E084504
	v_rcp_f32_e32 v5, v5                                       // 000000006EC4: 7E0A4505
	v_rcp_f32_e32 v6, v6                                       // 000000006EC8: 7E0C4506
	v_rcp_f32_e32 v7, v7                                       // 000000006ECC: 7E0E4507
	v_mul_f32_e32 v100, v100, v4                               // 000000006ED0: 0AC80964
	v_mul_f32_e32 v101, v101, v5                               // 000000006ED4: 0ACA0B65
	v_mul_f32_e32 v102, v102, v6                               // 000000006ED8: 0ACC0D66
	v_mul_f32_e32 v103, v103, v7                               // 000000006EDC: 0ACE0F67
	v_mul_f32_e32 v100, v100, v148                             // 000000006EE0: 0AC92964
	v_mul_f32_e32 v101, v101, v149                             // 000000006EE4: 0ACB2B65
	v_mul_f32_e32 v102, v102, v150                             // 000000006EE8: 0ACD2D66
	v_mul_f32_e32 v103, v103, v151                             // 000000006EEC: 0ACF2F67
	v_pk_mul_f32 v[4:5], v[104:105], v[104:105]                // 000000006EF0: D3B14004 1802D168
	v_pk_mul_f32 v[6:7], v[106:107], v[106:107]                // 000000006EF8: D3B14006 1802D56A
	v_pk_fma_f32 v[4:5], v[4:5], s[78:79], v[8:9]              // 000000006F00: D3B04004 1C209D04
	v_pk_fma_f32 v[6:7], v[6:7], s[78:79], v[8:9]              // 000000006F08: D3B04006 1C209D06
	v_pk_mul_f32 v[4:5], v[4:5], v[104:105]                    // 000000006F10: D3B14004 1802D104
	v_pk_mul_f32 v[6:7], v[6:7], v[106:107]                    // 000000006F18: D3B14006 1802D506
	v_pk_mul_f32 v[4:5], v[4:5], s[60:61]                      // 000000006F20: D3B14004 18007904
	v_pk_mul_f32 v[6:7], v[6:7], s[60:61]                      // 000000006F28: D3B14006 18007906
	v_exp_f32_e32 v4, v4                                       // 000000006F30: 7E084104
	v_exp_f32_e32 v5, v5                                       // 000000006F34: 7E0A4105
	v_exp_f32_e32 v6, v6                                       // 000000006F38: 7E0C4106
	v_exp_f32_e32 v7, v7                                       // 000000006F3C: 7E0E4107
	v_add_f32_e64 v4, v4, 1.0                                  // 000000006F40: D1010004 0001E504
	v_add_f32_e64 v5, v5, 1.0                                  // 000000006F48: D1010005 0001E505
	v_add_f32_e64 v6, v6, 1.0                                  // 000000006F50: D1010006 0001E506
	v_add_f32_e64 v7, v7, 1.0                                  // 000000006F58: D1010007 0001E507
	v_rcp_f32_e32 v4, v4                                       // 000000006F60: 7E084504
	v_rcp_f32_e32 v5, v5                                       // 000000006F64: 7E0A4505
	v_rcp_f32_e32 v6, v6                                       // 000000006F68: 7E0C4506
	v_rcp_f32_e32 v7, v7                                       // 000000006F6C: 7E0E4507
	v_mul_f32_e32 v104, v104, v4                               // 000000006F70: 0AD00968
	v_mul_f32_e32 v105, v105, v5                               // 000000006F74: 0AD20B69
	v_mul_f32_e32 v106, v106, v6                               // 000000006F78: 0AD40D6A
	v_mul_f32_e32 v107, v107, v7                               // 000000006F7C: 0AD60F6B
	v_mul_f32_e32 v104, v104, v152                             // 000000006F80: 0AD13168
	v_mul_f32_e32 v105, v105, v153                             // 000000006F84: 0AD33369
	v_mul_f32_e32 v106, v106, v154                             // 000000006F88: 0AD5356A
	v_mul_f32_e32 v107, v107, v155                             // 000000006F8C: 0AD7376B
	v_pk_mul_f32 v[4:5], v[108:109], v[108:109]                // 000000006F90: D3B14004 1802D96C
	v_pk_mul_f32 v[6:7], v[110:111], v[110:111]                // 000000006F98: D3B14006 1802DD6E
	v_pk_fma_f32 v[4:5], v[4:5], s[78:79], v[8:9]              // 000000006FA0: D3B04004 1C209D04
	v_pk_fma_f32 v[6:7], v[6:7], s[78:79], v[8:9]              // 000000006FA8: D3B04006 1C209D06
	v_pk_mul_f32 v[4:5], v[4:5], v[108:109]                    // 000000006FB0: D3B14004 1802D904
	v_pk_mul_f32 v[6:7], v[6:7], v[110:111]                    // 000000006FB8: D3B14006 1802DD06
	v_pk_mul_f32 v[4:5], v[4:5], s[60:61]                      // 000000006FC0: D3B14004 18007904
	v_pk_mul_f32 v[6:7], v[6:7], s[60:61]                      // 000000006FC8: D3B14006 18007906
	v_exp_f32_e32 v4, v4                                       // 000000006FD0: 7E084104
	v_exp_f32_e32 v5, v5                                       // 000000006FD4: 7E0A4105
	v_exp_f32_e32 v6, v6                                       // 000000006FD8: 7E0C4106
	v_exp_f32_e32 v7, v7                                       // 000000006FDC: 7E0E4107
	v_add_f32_e64 v4, v4, 1.0                                  // 000000006FE0: D1010004 0001E504
	v_add_f32_e64 v5, v5, 1.0                                  // 000000006FE8: D1010005 0001E505
	v_add_f32_e64 v6, v6, 1.0                                  // 000000006FF0: D1010006 0001E506
	v_add_f32_e64 v7, v7, 1.0                                  // 000000006FF8: D1010007 0001E507
	v_rcp_f32_e32 v4, v4                                       // 000000007000: 7E084504
	v_rcp_f32_e32 v5, v5                                       // 000000007004: 7E0A4505
	v_rcp_f32_e32 v6, v6                                       // 000000007008: 7E0C4506
	v_rcp_f32_e32 v7, v7                                       // 00000000700C: 7E0E4507
	v_mul_f32_e32 v108, v108, v4                               // 000000007010: 0AD8096C
	v_mul_f32_e32 v109, v109, v5                               // 000000007014: 0ADA0B6D
	v_mul_f32_e32 v110, v110, v6                               // 000000007018: 0ADC0D6E
	v_mul_f32_e32 v111, v111, v7                               // 00000000701C: 0ADE0F6F
	v_mul_f32_e32 v108, v108, v156                             // 000000007020: 0AD9396C
	v_mul_f32_e32 v109, v109, v157                             // 000000007024: 0ADB3B6D
	v_mul_f32_e32 v110, v110, v158                             // 000000007028: 0ADD3D6E
	v_mul_f32_e32 v111, v111, v159                             // 00000000702C: 0ADF3F6F
	v_pk_mul_f32 v[4:5], v[112:113], v[112:113]                // 000000007030: D3B14004 1802E170
	v_pk_mul_f32 v[6:7], v[114:115], v[114:115]                // 000000007038: D3B14006 1802E572
	v_pk_fma_f32 v[4:5], v[4:5], s[78:79], v[8:9]              // 000000007040: D3B04004 1C209D04
	v_pk_fma_f32 v[6:7], v[6:7], s[78:79], v[8:9]              // 000000007048: D3B04006 1C209D06
	v_pk_mul_f32 v[4:5], v[4:5], v[112:113]                    // 000000007050: D3B14004 1802E104
	v_pk_mul_f32 v[6:7], v[6:7], v[114:115]                    // 000000007058: D3B14006 1802E506
	v_pk_mul_f32 v[4:5], v[4:5], s[60:61]                      // 000000007060: D3B14004 18007904
	v_pk_mul_f32 v[6:7], v[6:7], s[60:61]                      // 000000007068: D3B14006 18007906
	v_exp_f32_e32 v4, v4                                       // 000000007070: 7E084104
	v_exp_f32_e32 v5, v5                                       // 000000007074: 7E0A4105
	v_exp_f32_e32 v6, v6                                       // 000000007078: 7E0C4106
	v_exp_f32_e32 v7, v7                                       // 00000000707C: 7E0E4107
	v_add_f32_e64 v4, v4, 1.0                                  // 000000007080: D1010004 0001E504
	v_add_f32_e64 v5, v5, 1.0                                  // 000000007088: D1010005 0001E505
	v_add_f32_e64 v6, v6, 1.0                                  // 000000007090: D1010006 0001E506
	v_add_f32_e64 v7, v7, 1.0                                  // 000000007098: D1010007 0001E507
	v_rcp_f32_e32 v4, v4                                       // 0000000070A0: 7E084504
	v_rcp_f32_e32 v5, v5                                       // 0000000070A4: 7E0A4505
	v_rcp_f32_e32 v6, v6                                       // 0000000070A8: 7E0C4506
	v_rcp_f32_e32 v7, v7                                       // 0000000070AC: 7E0E4507
	v_mul_f32_e32 v112, v112, v4                               // 0000000070B0: 0AE00970
	v_mul_f32_e32 v113, v113, v5                               // 0000000070B4: 0AE20B71
	v_mul_f32_e32 v114, v114, v6                               // 0000000070B8: 0AE40D72
	v_mul_f32_e32 v115, v115, v7                               // 0000000070BC: 0AE60F73
	v_mul_f32_e32 v112, v112, v160                             // 0000000070C0: 0AE14170
	v_mul_f32_e32 v113, v113, v161                             // 0000000070C4: 0AE34371
	v_mul_f32_e32 v114, v114, v162                             // 0000000070C8: 0AE54572
	v_mul_f32_e32 v115, v115, v163                             // 0000000070CC: 0AE74773
	s_branch label_1335                                        // 0000000070D0: BF820180

00000000000070d4 <label_11B5>:
	v_mul_f32_e64 v4, -v68, s6                                 // 0000000070D4: D1050004 20000D44
	v_mul_f32_e64 v5, -v69, s6                                 // 0000000070DC: D1050005 20000D45
	v_mul_f32_e64 v6, -v70, s6                                 // 0000000070E4: D1050006 20000D46
	v_mul_f32_e64 v7, -v71, s6                                 // 0000000070EC: D1050007 20000D47
	v_exp_f32_e32 v4, v4                                       // 0000000070F4: 7E084104
	v_exp_f32_e32 v5, v5                                       // 0000000070F8: 7E0A4105
	v_exp_f32_e32 v6, v6                                       // 0000000070FC: 7E0C4106
	v_exp_f32_e32 v7, v7                                       // 000000007100: 7E0E4107
	v_add_f32_e64 v4, v4, 1.0                                  // 000000007104: D1010004 0001E504
	v_add_f32_e64 v5, v5, 1.0                                  // 00000000710C: D1010005 0001E505
	v_add_f32_e64 v6, v6, 1.0                                  // 000000007114: D1010006 0001E506
	v_add_f32_e64 v7, v7, 1.0                                  // 00000000711C: D1010007 0001E507
	v_rcp_f32_e32 v4, v4                                       // 000000007124: 7E084504
	v_rcp_f32_e32 v5, v5                                       // 000000007128: 7E0A4505
	v_rcp_f32_e32 v6, v6                                       // 00000000712C: 7E0C4506
	v_rcp_f32_e32 v7, v7                                       // 000000007130: 7E0E4507
	v_mul_f32_e32 v68, v68, v4                                 // 000000007134: 0A880944
	v_mul_f32_e32 v69, v69, v5                                 // 000000007138: 0A8A0B45
	v_mul_f32_e32 v70, v70, v6                                 // 00000000713C: 0A8C0D46
	v_mul_f32_e32 v71, v71, v7                                 // 000000007140: 0A8E0F47
	v_mul_f32_e32 v68, v68, v116                               // 000000007144: 0A88E944
	v_mul_f32_e32 v69, v69, v117                               // 000000007148: 0A8AEB45
	v_mul_f32_e32 v70, v70, v118                               // 00000000714C: 0A8CED46
	v_mul_f32_e32 v71, v71, v119                               // 000000007150: 0A8EEF47
	v_mul_f32_e64 v4, -v72, s6                                 // 000000007154: D1050004 20000D48
	v_mul_f32_e64 v5, -v73, s6                                 // 00000000715C: D1050005 20000D49
	v_mul_f32_e64 v6, -v74, s6                                 // 000000007164: D1050006 20000D4A
	v_mul_f32_e64 v7, -v75, s6                                 // 00000000716C: D1050007 20000D4B
	v_exp_f32_e32 v4, v4                                       // 000000007174: 7E084104
	v_exp_f32_e32 v5, v5                                       // 000000007178: 7E0A4105
	v_exp_f32_e32 v6, v6                                       // 00000000717C: 7E0C4106
	v_exp_f32_e32 v7, v7                                       // 000000007180: 7E0E4107
	v_add_f32_e64 v4, v4, 1.0                                  // 000000007184: D1010004 0001E504
	v_add_f32_e64 v5, v5, 1.0                                  // 00000000718C: D1010005 0001E505
	v_add_f32_e64 v6, v6, 1.0                                  // 000000007194: D1010006 0001E506
	v_add_f32_e64 v7, v7, 1.0                                  // 00000000719C: D1010007 0001E507
	v_rcp_f32_e32 v4, v4                                       // 0000000071A4: 7E084504
	v_rcp_f32_e32 v5, v5                                       // 0000000071A8: 7E0A4505
	v_rcp_f32_e32 v6, v6                                       // 0000000071AC: 7E0C4506
	v_rcp_f32_e32 v7, v7                                       // 0000000071B0: 7E0E4507
	v_mul_f32_e32 v72, v72, v4                                 // 0000000071B4: 0A900948
	v_mul_f32_e32 v73, v73, v5                                 // 0000000071B8: 0A920B49
	v_mul_f32_e32 v74, v74, v6                                 // 0000000071BC: 0A940D4A
	v_mul_f32_e32 v75, v75, v7                                 // 0000000071C0: 0A960F4B
	v_mul_f32_e32 v72, v72, v120                               // 0000000071C4: 0A90F148
	v_mul_f32_e32 v73, v73, v121                               // 0000000071C8: 0A92F349
	v_mul_f32_e32 v74, v74, v122                               // 0000000071CC: 0A94F54A
	v_mul_f32_e32 v75, v75, v123                               // 0000000071D0: 0A96F74B
	v_mul_f32_e64 v4, -v76, s6                                 // 0000000071D4: D1050004 20000D4C
	v_mul_f32_e64 v5, -v77, s6                                 // 0000000071DC: D1050005 20000D4D
	v_mul_f32_e64 v6, -v78, s6                                 // 0000000071E4: D1050006 20000D4E
	v_mul_f32_e64 v7, -v79, s6                                 // 0000000071EC: D1050007 20000D4F
	v_exp_f32_e32 v4, v4                                       // 0000000071F4: 7E084104
	v_exp_f32_e32 v5, v5                                       // 0000000071F8: 7E0A4105
	v_exp_f32_e32 v6, v6                                       // 0000000071FC: 7E0C4106
	v_exp_f32_e32 v7, v7                                       // 000000007200: 7E0E4107
	v_add_f32_e64 v4, v4, 1.0                                  // 000000007204: D1010004 0001E504
	v_add_f32_e64 v5, v5, 1.0                                  // 00000000720C: D1010005 0001E505
	v_add_f32_e64 v6, v6, 1.0                                  // 000000007214: D1010006 0001E506
	v_add_f32_e64 v7, v7, 1.0                                  // 00000000721C: D1010007 0001E507
	v_rcp_f32_e32 v4, v4                                       // 000000007224: 7E084504
	v_rcp_f32_e32 v5, v5                                       // 000000007228: 7E0A4505
	v_rcp_f32_e32 v6, v6                                       // 00000000722C: 7E0C4506
	v_rcp_f32_e32 v7, v7                                       // 000000007230: 7E0E4507
	v_mul_f32_e32 v76, v76, v4                                 // 000000007234: 0A98094C
	v_mul_f32_e32 v77, v77, v5                                 // 000000007238: 0A9A0B4D
	v_mul_f32_e32 v78, v78, v6                                 // 00000000723C: 0A9C0D4E
	v_mul_f32_e32 v79, v79, v7                                 // 000000007240: 0A9E0F4F
	v_mul_f32_e32 v76, v76, v124                               // 000000007244: 0A98F94C
	v_mul_f32_e32 v77, v77, v125                               // 000000007248: 0A9AFB4D
	v_mul_f32_e32 v78, v78, v126                               // 00000000724C: 0A9CFD4E
	v_mul_f32_e32 v79, v79, v127                               // 000000007250: 0A9EFF4F
	v_mul_f32_e64 v4, -v80, s6                                 // 000000007254: D1050004 20000D50
	v_mul_f32_e64 v5, -v81, s6                                 // 00000000725C: D1050005 20000D51
	v_mul_f32_e64 v6, -v82, s6                                 // 000000007264: D1050006 20000D52
	v_mul_f32_e64 v7, -v83, s6                                 // 00000000726C: D1050007 20000D53
	v_exp_f32_e32 v4, v4                                       // 000000007274: 7E084104
	v_exp_f32_e32 v5, v5                                       // 000000007278: 7E0A4105
	v_exp_f32_e32 v6, v6                                       // 00000000727C: 7E0C4106
	v_exp_f32_e32 v7, v7                                       // 000000007280: 7E0E4107
	v_add_f32_e64 v4, v4, 1.0                                  // 000000007284: D1010004 0001E504
	v_add_f32_e64 v5, v5, 1.0                                  // 00000000728C: D1010005 0001E505
	v_add_f32_e64 v6, v6, 1.0                                  // 000000007294: D1010006 0001E506
	v_add_f32_e64 v7, v7, 1.0                                  // 00000000729C: D1010007 0001E507
	v_rcp_f32_e32 v4, v4                                       // 0000000072A4: 7E084504
	v_rcp_f32_e32 v5, v5                                       // 0000000072A8: 7E0A4505
	v_rcp_f32_e32 v6, v6                                       // 0000000072AC: 7E0C4506
	v_rcp_f32_e32 v7, v7                                       // 0000000072B0: 7E0E4507
	v_mul_f32_e32 v80, v80, v4                                 // 0000000072B4: 0AA00950
	v_mul_f32_e32 v81, v81, v5                                 // 0000000072B8: 0AA20B51
	v_mul_f32_e32 v82, v82, v6                                 // 0000000072BC: 0AA40D52
	v_mul_f32_e32 v83, v83, v7                                 // 0000000072C0: 0AA60F53
	v_mul_f32_e32 v80, v80, v128                               // 0000000072C4: 0AA10150
	v_mul_f32_e32 v81, v81, v129                               // 0000000072C8: 0AA30351
	v_mul_f32_e32 v82, v82, v130                               // 0000000072CC: 0AA50552
	v_mul_f32_e32 v83, v83, v131                               // 0000000072D0: 0AA70753
	v_mul_f32_e64 v4, -v84, s6                                 // 0000000072D4: D1050004 20000D54
	v_mul_f32_e64 v5, -v85, s6                                 // 0000000072DC: D1050005 20000D55
	v_mul_f32_e64 v6, -v86, s6                                 // 0000000072E4: D1050006 20000D56
	v_mul_f32_e64 v7, -v87, s6                                 // 0000000072EC: D1050007 20000D57
	v_exp_f32_e32 v4, v4                                       // 0000000072F4: 7E084104
	v_exp_f32_e32 v5, v5                                       // 0000000072F8: 7E0A4105
	v_exp_f32_e32 v6, v6                                       // 0000000072FC: 7E0C4106
	v_exp_f32_e32 v7, v7                                       // 000000007300: 7E0E4107
	v_add_f32_e64 v4, v4, 1.0                                  // 000000007304: D1010004 0001E504
	v_add_f32_e64 v5, v5, 1.0                                  // 00000000730C: D1010005 0001E505
	v_add_f32_e64 v6, v6, 1.0                                  // 000000007314: D1010006 0001E506
	v_add_f32_e64 v7, v7, 1.0                                  // 00000000731C: D1010007 0001E507
	v_rcp_f32_e32 v4, v4                                       // 000000007324: 7E084504
	v_rcp_f32_e32 v5, v5                                       // 000000007328: 7E0A4505
	v_rcp_f32_e32 v6, v6                                       // 00000000732C: 7E0C4506
	v_rcp_f32_e32 v7, v7                                       // 000000007330: 7E0E4507
	v_mul_f32_e32 v84, v84, v4                                 // 000000007334: 0AA80954
	v_mul_f32_e32 v85, v85, v5                                 // 000000007338: 0AAA0B55
	v_mul_f32_e32 v86, v86, v6                                 // 00000000733C: 0AAC0D56
	v_mul_f32_e32 v87, v87, v7                                 // 000000007340: 0AAE0F57
	v_mul_f32_e32 v84, v84, v132                               // 000000007344: 0AA90954
	v_mul_f32_e32 v85, v85, v133                               // 000000007348: 0AAB0B55
	v_mul_f32_e32 v86, v86, v134                               // 00000000734C: 0AAD0D56
	v_mul_f32_e32 v87, v87, v135                               // 000000007350: 0AAF0F57
	v_mul_f32_e64 v4, -v88, s6                                 // 000000007354: D1050004 20000D58
	v_mul_f32_e64 v5, -v89, s6                                 // 00000000735C: D1050005 20000D59
	v_mul_f32_e64 v6, -v90, s6                                 // 000000007364: D1050006 20000D5A
	v_mul_f32_e64 v7, -v91, s6                                 // 00000000736C: D1050007 20000D5B
	v_exp_f32_e32 v4, v4                                       // 000000007374: 7E084104
	v_exp_f32_e32 v5, v5                                       // 000000007378: 7E0A4105
	v_exp_f32_e32 v6, v6                                       // 00000000737C: 7E0C4106
	v_exp_f32_e32 v7, v7                                       // 000000007380: 7E0E4107
	v_add_f32_e64 v4, v4, 1.0                                  // 000000007384: D1010004 0001E504
	v_add_f32_e64 v5, v5, 1.0                                  // 00000000738C: D1010005 0001E505
	v_add_f32_e64 v6, v6, 1.0                                  // 000000007394: D1010006 0001E506
	v_add_f32_e64 v7, v7, 1.0                                  // 00000000739C: D1010007 0001E507
	v_rcp_f32_e32 v4, v4                                       // 0000000073A4: 7E084504
	v_rcp_f32_e32 v5, v5                                       // 0000000073A8: 7E0A4505
	v_rcp_f32_e32 v6, v6                                       // 0000000073AC: 7E0C4506
	v_rcp_f32_e32 v7, v7                                       // 0000000073B0: 7E0E4507
	v_mul_f32_e32 v88, v88, v4                                 // 0000000073B4: 0AB00958
	v_mul_f32_e32 v89, v89, v5                                 // 0000000073B8: 0AB20B59
	v_mul_f32_e32 v90, v90, v6                                 // 0000000073BC: 0AB40D5A
	v_mul_f32_e32 v91, v91, v7                                 // 0000000073C0: 0AB60F5B
	v_mul_f32_e32 v88, v88, v136                               // 0000000073C4: 0AB11158
	v_mul_f32_e32 v89, v89, v137                               // 0000000073C8: 0AB31359
	v_mul_f32_e32 v90, v90, v138                               // 0000000073CC: 0AB5155A
	v_mul_f32_e32 v91, v91, v139                               // 0000000073D0: 0AB7175B
	v_mul_f32_e64 v4, -v92, s6                                 // 0000000073D4: D1050004 20000D5C
	v_mul_f32_e64 v5, -v93, s6                                 // 0000000073DC: D1050005 20000D5D
	v_mul_f32_e64 v6, -v94, s6                                 // 0000000073E4: D1050006 20000D5E
	v_mul_f32_e64 v7, -v95, s6                                 // 0000000073EC: D1050007 20000D5F
	v_exp_f32_e32 v4, v4                                       // 0000000073F4: 7E084104
	v_exp_f32_e32 v5, v5                                       // 0000000073F8: 7E0A4105
	v_exp_f32_e32 v6, v6                                       // 0000000073FC: 7E0C4106
	v_exp_f32_e32 v7, v7                                       // 000000007400: 7E0E4107
	v_add_f32_e64 v4, v4, 1.0                                  // 000000007404: D1010004 0001E504
	v_add_f32_e64 v5, v5, 1.0                                  // 00000000740C: D1010005 0001E505
	v_add_f32_e64 v6, v6, 1.0                                  // 000000007414: D1010006 0001E506
	v_add_f32_e64 v7, v7, 1.0                                  // 00000000741C: D1010007 0001E507
	v_rcp_f32_e32 v4, v4                                       // 000000007424: 7E084504
	v_rcp_f32_e32 v5, v5                                       // 000000007428: 7E0A4505
	v_rcp_f32_e32 v6, v6                                       // 00000000742C: 7E0C4506
	v_rcp_f32_e32 v7, v7                                       // 000000007430: 7E0E4507
	v_mul_f32_e32 v92, v92, v4                                 // 000000007434: 0AB8095C
	v_mul_f32_e32 v93, v93, v5                                 // 000000007438: 0ABA0B5D
	v_mul_f32_e32 v94, v94, v6                                 // 00000000743C: 0ABC0D5E
	v_mul_f32_e32 v95, v95, v7                                 // 000000007440: 0ABE0F5F
	v_mul_f32_e32 v92, v92, v140                               // 000000007444: 0AB9195C
	v_mul_f32_e32 v93, v93, v141                               // 000000007448: 0ABB1B5D
	v_mul_f32_e32 v94, v94, v142                               // 00000000744C: 0ABD1D5E
	v_mul_f32_e32 v95, v95, v143                               // 000000007450: 0ABF1F5F
	v_mul_f32_e64 v4, -v96, s6                                 // 000000007454: D1050004 20000D60
	v_mul_f32_e64 v5, -v97, s6                                 // 00000000745C: D1050005 20000D61
	v_mul_f32_e64 v6, -v98, s6                                 // 000000007464: D1050006 20000D62
	v_mul_f32_e64 v7, -v99, s6                                 // 00000000746C: D1050007 20000D63
	v_exp_f32_e32 v4, v4                                       // 000000007474: 7E084104
	v_exp_f32_e32 v5, v5                                       // 000000007478: 7E0A4105
	v_exp_f32_e32 v6, v6                                       // 00000000747C: 7E0C4106
	v_exp_f32_e32 v7, v7                                       // 000000007480: 7E0E4107
	v_add_f32_e64 v4, v4, 1.0                                  // 000000007484: D1010004 0001E504
	v_add_f32_e64 v5, v5, 1.0                                  // 00000000748C: D1010005 0001E505
	v_add_f32_e64 v6, v6, 1.0                                  // 000000007494: D1010006 0001E506
	v_add_f32_e64 v7, v7, 1.0                                  // 00000000749C: D1010007 0001E507
	v_rcp_f32_e32 v4, v4                                       // 0000000074A4: 7E084504
	v_rcp_f32_e32 v5, v5                                       // 0000000074A8: 7E0A4505
	v_rcp_f32_e32 v6, v6                                       // 0000000074AC: 7E0C4506
	v_rcp_f32_e32 v7, v7                                       // 0000000074B0: 7E0E4507
	v_mul_f32_e32 v96, v96, v4                                 // 0000000074B4: 0AC00960
	v_mul_f32_e32 v97, v97, v5                                 // 0000000074B8: 0AC20B61
	v_mul_f32_e32 v98, v98, v6                                 // 0000000074BC: 0AC40D62
	v_mul_f32_e32 v99, v99, v7                                 // 0000000074C0: 0AC60F63
	v_mul_f32_e32 v96, v96, v144                               // 0000000074C4: 0AC12160
	v_mul_f32_e32 v97, v97, v145                               // 0000000074C8: 0AC32361
	v_mul_f32_e32 v98, v98, v146                               // 0000000074CC: 0AC52562
	v_mul_f32_e32 v99, v99, v147                               // 0000000074D0: 0AC72763
	v_mul_f32_e64 v4, -v100, s6                                // 0000000074D4: D1050004 20000D64
	v_mul_f32_e64 v5, -v101, s6                                // 0000000074DC: D1050005 20000D65
	v_mul_f32_e64 v6, -v102, s6                                // 0000000074E4: D1050006 20000D66
	v_mul_f32_e64 v7, -v103, s6                                // 0000000074EC: D1050007 20000D67
	v_exp_f32_e32 v4, v4                                       // 0000000074F4: 7E084104
	v_exp_f32_e32 v5, v5                                       // 0000000074F8: 7E0A4105
	v_exp_f32_e32 v6, v6                                       // 0000000074FC: 7E0C4106
	v_exp_f32_e32 v7, v7                                       // 000000007500: 7E0E4107
	v_add_f32_e64 v4, v4, 1.0                                  // 000000007504: D1010004 0001E504
	v_add_f32_e64 v5, v5, 1.0                                  // 00000000750C: D1010005 0001E505
	v_add_f32_e64 v6, v6, 1.0                                  // 000000007514: D1010006 0001E506
	v_add_f32_e64 v7, v7, 1.0                                  // 00000000751C: D1010007 0001E507
	v_rcp_f32_e32 v4, v4                                       // 000000007524: 7E084504
	v_rcp_f32_e32 v5, v5                                       // 000000007528: 7E0A4505
	v_rcp_f32_e32 v6, v6                                       // 00000000752C: 7E0C4506
	v_rcp_f32_e32 v7, v7                                       // 000000007530: 7E0E4507
	v_mul_f32_e32 v100, v100, v4                               // 000000007534: 0AC80964
	v_mul_f32_e32 v101, v101, v5                               // 000000007538: 0ACA0B65
	v_mul_f32_e32 v102, v102, v6                               // 00000000753C: 0ACC0D66
	v_mul_f32_e32 v103, v103, v7                               // 000000007540: 0ACE0F67
	v_mul_f32_e32 v100, v100, v148                             // 000000007544: 0AC92964
	v_mul_f32_e32 v101, v101, v149                             // 000000007548: 0ACB2B65
	v_mul_f32_e32 v102, v102, v150                             // 00000000754C: 0ACD2D66
	v_mul_f32_e32 v103, v103, v151                             // 000000007550: 0ACF2F67
	v_mul_f32_e64 v4, -v104, s6                                // 000000007554: D1050004 20000D68
	v_mul_f32_e64 v5, -v105, s6                                // 00000000755C: D1050005 20000D69
	v_mul_f32_e64 v6, -v106, s6                                // 000000007564: D1050006 20000D6A
	v_mul_f32_e64 v7, -v107, s6                                // 00000000756C: D1050007 20000D6B
	v_exp_f32_e32 v4, v4                                       // 000000007574: 7E084104
	v_exp_f32_e32 v5, v5                                       // 000000007578: 7E0A4105
	v_exp_f32_e32 v6, v6                                       // 00000000757C: 7E0C4106
	v_exp_f32_e32 v7, v7                                       // 000000007580: 7E0E4107
	v_add_f32_e64 v4, v4, 1.0                                  // 000000007584: D1010004 0001E504
	v_add_f32_e64 v5, v5, 1.0                                  // 00000000758C: D1010005 0001E505
	v_add_f32_e64 v6, v6, 1.0                                  // 000000007594: D1010006 0001E506
	v_add_f32_e64 v7, v7, 1.0                                  // 00000000759C: D1010007 0001E507
	v_rcp_f32_e32 v4, v4                                       // 0000000075A4: 7E084504
	v_rcp_f32_e32 v5, v5                                       // 0000000075A8: 7E0A4505
	v_rcp_f32_e32 v6, v6                                       // 0000000075AC: 7E0C4506
	v_rcp_f32_e32 v7, v7                                       // 0000000075B0: 7E0E4507
	v_mul_f32_e32 v104, v104, v4                               // 0000000075B4: 0AD00968
	v_mul_f32_e32 v105, v105, v5                               // 0000000075B8: 0AD20B69
	v_mul_f32_e32 v106, v106, v6                               // 0000000075BC: 0AD40D6A
	v_mul_f32_e32 v107, v107, v7                               // 0000000075C0: 0AD60F6B
	v_mul_f32_e32 v104, v104, v152                             // 0000000075C4: 0AD13168
	v_mul_f32_e32 v105, v105, v153                             // 0000000075C8: 0AD33369
	v_mul_f32_e32 v106, v106, v154                             // 0000000075CC: 0AD5356A
	v_mul_f32_e32 v107, v107, v155                             // 0000000075D0: 0AD7376B
	v_mul_f32_e64 v4, -v108, s6                                // 0000000075D4: D1050004 20000D6C
	v_mul_f32_e64 v5, -v109, s6                                // 0000000075DC: D1050005 20000D6D
	v_mul_f32_e64 v6, -v110, s6                                // 0000000075E4: D1050006 20000D6E
	v_mul_f32_e64 v7, -v111, s6                                // 0000000075EC: D1050007 20000D6F
	v_exp_f32_e32 v4, v4                                       // 0000000075F4: 7E084104
	v_exp_f32_e32 v5, v5                                       // 0000000075F8: 7E0A4105
	v_exp_f32_e32 v6, v6                                       // 0000000075FC: 7E0C4106
	v_exp_f32_e32 v7, v7                                       // 000000007600: 7E0E4107
	v_add_f32_e64 v4, v4, 1.0                                  // 000000007604: D1010004 0001E504
	v_add_f32_e64 v5, v5, 1.0                                  // 00000000760C: D1010005 0001E505
	v_add_f32_e64 v6, v6, 1.0                                  // 000000007614: D1010006 0001E506
	v_add_f32_e64 v7, v7, 1.0                                  // 00000000761C: D1010007 0001E507
	v_rcp_f32_e32 v4, v4                                       // 000000007624: 7E084504
	v_rcp_f32_e32 v5, v5                                       // 000000007628: 7E0A4505
	v_rcp_f32_e32 v6, v6                                       // 00000000762C: 7E0C4506
	v_rcp_f32_e32 v7, v7                                       // 000000007630: 7E0E4507
	v_mul_f32_e32 v108, v108, v4                               // 000000007634: 0AD8096C
	v_mul_f32_e32 v109, v109, v5                               // 000000007638: 0ADA0B6D
	v_mul_f32_e32 v110, v110, v6                               // 00000000763C: 0ADC0D6E
	v_mul_f32_e32 v111, v111, v7                               // 000000007640: 0ADE0F6F
	v_mul_f32_e32 v108, v108, v156                             // 000000007644: 0AD9396C
	v_mul_f32_e32 v109, v109, v157                             // 000000007648: 0ADB3B6D
	v_mul_f32_e32 v110, v110, v158                             // 00000000764C: 0ADD3D6E
	v_mul_f32_e32 v111, v111, v159                             // 000000007650: 0ADF3F6F
	v_mul_f32_e64 v4, -v112, s6                                // 000000007654: D1050004 20000D70
	v_mul_f32_e64 v5, -v113, s6                                // 00000000765C: D1050005 20000D71
	v_mul_f32_e64 v6, -v114, s6                                // 000000007664: D1050006 20000D72
	v_mul_f32_e64 v7, -v115, s6                                // 00000000766C: D1050007 20000D73
	v_exp_f32_e32 v4, v4                                       // 000000007674: 7E084104
	v_exp_f32_e32 v5, v5                                       // 000000007678: 7E0A4105
	v_exp_f32_e32 v6, v6                                       // 00000000767C: 7E0C4106
	v_exp_f32_e32 v7, v7                                       // 000000007680: 7E0E4107
	v_add_f32_e64 v4, v4, 1.0                                  // 000000007684: D1010004 0001E504
	v_add_f32_e64 v5, v5, 1.0                                  // 00000000768C: D1010005 0001E505
	v_add_f32_e64 v6, v6, 1.0                                  // 000000007694: D1010006 0001E506
	v_add_f32_e64 v7, v7, 1.0                                  // 00000000769C: D1010007 0001E507
	v_rcp_f32_e32 v4, v4                                       // 0000000076A4: 7E084504
	v_rcp_f32_e32 v5, v5                                       // 0000000076A8: 7E0A4505
	v_rcp_f32_e32 v6, v6                                       // 0000000076AC: 7E0C4506
	v_rcp_f32_e32 v7, v7                                       // 0000000076B0: 7E0E4507
	v_mul_f32_e32 v112, v112, v4                               // 0000000076B4: 0AE00970
	v_mul_f32_e32 v113, v113, v5                               // 0000000076B8: 0AE20B71
	v_mul_f32_e32 v114, v114, v6                               // 0000000076BC: 0AE40D72
	v_mul_f32_e32 v115, v115, v7                               // 0000000076C0: 0AE60F73
	v_mul_f32_e32 v112, v112, v160                             // 0000000076C4: 0AE14170
	v_mul_f32_e32 v113, v113, v161                             // 0000000076C8: 0AE34371
	v_mul_f32_e32 v114, v114, v162                             // 0000000076CC: 0AE54572
	v_mul_f32_e32 v115, v115, v163                             // 0000000076D0: 0AE74773

00000000000076d4 <label_1335>:
	s_cmp_eq_u32 s7, 0                                         // 0000000076D4: BF068007
	s_cbranch_scc0 label_134B                                  // 0000000076D8: BF840014
	v_and_b32_e32 v4, 15, v0                                   // 0000000076DC: 2608008F
	v_lshlrev_b32_e32 v4, 2, v4                                // 0000000076E0: 24080882
	buffer_load_dword v30, v4, s[12:15], 0 offen               // 0000000076E4: E0501000 80031E04
	v_add_u32_e32 v4, 64, v4                                   // 0000000076EC: 680808C0
	buffer_load_dword v31, v4, s[12:15], 0 offen               // 0000000076F0: E0501000 80031F04
	v_add_u32_e32 v4, 64, v4                                   // 0000000076F8: 680808C0
	buffer_load_dword v32, v4, s[12:15], 0 offen               // 0000000076FC: E0501000 80032004
	v_add_u32_e32 v4, 64, v4                                   // 000000007704: 680808C0
	buffer_load_dword v33, v4, s[12:15], 0 offen               // 000000007708: E0501000 80032104
	v_add_u32_e32 v4, 64, v4                                   // 000000007710: 680808C0
	buffer_load_dword v34, v4, s[12:15], 0 offen               // 000000007714: E0501000 80032204
	v_add_u32_e32 v4, 64, v4                                   // 00000000771C: 680808C0
	buffer_load_dword v35, v4, s[12:15], 0 offen               // 000000007720: E0501000 80032304
	v_add_u32_e32 v4, 64, v4                                   // 000000007728: 680808C0

000000000000772c <label_134B>:
	v_lshlrev_b32_e32 v4, 2, v0                                // 00000000772C: 24080082
	s_mul_i32 s60, 0x100, s7                                   // 000000007730: 923C07FF 00000100
	v_add_u32_e32 v122, s60, v4                                // 000000007738: 68F4083C
	v_and_b32_e32 v4, 15, v0                                   // 00000000773C: 2608008F
	v_lshlrev_b32_e32 v123, 2, v4                              // 000000007740: 24F60882
	s_waitcnt lgkmcnt(0)                                       // 000000007744: BF8CC07F
	s_barrier                                                  // 000000007748: BF8A0000
	v_mov_b32_e32 v116, 0x358637bd                             // 00000000774C: 7EE802FF 358637BD
	v_max3_f32 v116, |v68|, |v69|, v116                        // 000000007754: D1D30374 05D28B44
	v_max3_f32 v116, |v70|, |v71|, v116                        // 00000000775C: D1D30374 05D28F46
	v_max3_f32 v116, |v92|, |v93|, v116                        // 000000007764: D1D30374 05D2BB5C
	v_max3_f32 v116, |v94|, |v95|, v116                        // 00000000776C: D1D30374 05D2BF5E
	ds_write_b32 v122, v116                                    // 000000007774: D81A0000 0000747A
	s_waitcnt lgkmcnt(0)                                       // 00000000777C: BF8CC07F
	s_barrier                                                  // 000000007780: BF8A0000
	ds_read_b32 v4, v123                                       // 000000007784: D86C0000 0400007B
	ds_read_b32 v5, v123 offset:64                             // 00000000778C: D86C0040 0500007B
	ds_read_b32 v6, v123 offset:128                            // 000000007794: D86C0080 0600007B
	ds_read_b32 v7, v123 offset:192                            // 00000000779C: D86C00C0 0700007B
	ds_read_b32 v8, v123 offset:256                            // 0000000077A4: D86C0100 0800007B
	ds_read_b32 v9, v123 offset:320                            // 0000000077AC: D86C0140 0900007B
	ds_read_b32 v10, v123 offset:384                           // 0000000077B4: D86C0180 0A00007B
	ds_read_b32 v11, v123 offset:448                           // 0000000077BC: D86C01C0 0B00007B
	ds_read_b32 v12, v123 offset:512                           // 0000000077C4: D86C0200 0C00007B
	ds_read_b32 v13, v123 offset:576                           // 0000000077CC: D86C0240 0D00007B
	ds_read_b32 v14, v123 offset:640                           // 0000000077D4: D86C0280 0E00007B
	ds_read_b32 v15, v123 offset:704                           // 0000000077DC: D86C02C0 0F00007B
	ds_read_b32 v16, v123 offset:768                           // 0000000077E4: D86C0300 1000007B
	ds_read_b32 v17, v123 offset:832                           // 0000000077EC: D86C0340 1100007B
	ds_read_b32 v18, v123 offset:896                           // 0000000077F4: D86C0380 1200007B
	ds_read_b32 v19, v123 offset:960                           // 0000000077FC: D86C03C0 1300007B
	s_waitcnt lgkmcnt(0)                                       // 000000007804: BF8CC07F
	s_barrier                                                  // 000000007808: BF8A0000
	v_max3_f32 v116, |v4|, |v5|, v116                          // 00000000780C: D1D30374 05D20B04
	v_max3_f32 v116, |v6|, |v7|, v116                          // 000000007814: D1D30374 05D20F06
	v_max3_f32 v116, |v8|, |v9|, v116                          // 00000000781C: D1D30374 05D21308
	v_max3_f32 v116, |v10|, |v11|, v116                        // 000000007824: D1D30374 05D2170A
	v_max3_f32 v116, |v12|, |v13|, v116                        // 00000000782C: D1D30374 05D21B0C
	v_max3_f32 v116, |v14|, |v15|, v116                        // 000000007834: D1D30374 05D21F0E
	v_max3_f32 v116, |v16|, |v17|, v116                        // 00000000783C: D1D30374 05D22310
	v_max3_f32 v116, |v18|, |v19|, v116                        // 000000007844: D1D30374 05D22712
	v_rcp_f32_e32 v116, v116                                   // 00000000784C: 7EE84574
	v_mov_b32_e32 v4, 0x43700000                               // 000000007850: 7E0802FF 43700000
	v_mul_f32_e32 v116, v4, v116                               // 000000007858: 0AE8E904
	v_mov_b32_e32 v4, v116                                     // 00000000785C: 7E080374
	v_mov_b32_e32 v5, v4                                       // 000000007860: 7E0A0304
	v_pk_mul_f32 v[68:69], v[4:5], v[68:69]                    // 000000007864: D3B14044 18028904
	v_pk_mul_f32 v[70:71], v[4:5], v[70:71]                    // 00000000786C: D3B14046 18028D04
	v_cvt_pk_fp8_f32 v68, v68, v69                             // 000000007874: D2A20044 00028B44
	v_cvt_pk_fp8_f32 v68, v70, v71 op_sel:[0,0,1]              // 00000000787C: D2A24044 00028F46
	v_pk_mul_f32 v[92:93], v[4:5], v[92:93]                    // 000000007884: D3B1405C 1802B904
	v_pk_mul_f32 v[94:95], v[4:5], v[94:95]                    // 00000000788C: D3B1405E 1802BD04
	v_cvt_pk_fp8_f32 v92, v92, v93                             // 000000007894: D2A2005C 0002BB5C
	v_cvt_pk_fp8_f32 v92, v94, v95 op_sel:[0,0,1]              // 00000000789C: D2A2405C 0002BF5E
	v_rcp_f32_e32 v116, v116                                   // 0000000078A4: 7EE84574
	v_mov_b32_e32 v117, 0x358637bd                             // 0000000078A8: 7EEA02FF 358637BD
	v_max3_f32 v117, |v72|, |v73|, v117                        // 0000000078B0: D1D30375 05D69348
	v_max3_f32 v117, |v74|, |v75|, v117                        // 0000000078B8: D1D30375 05D6974A
	v_max3_f32 v117, |v96|, |v97|, v117                        // 0000000078C0: D1D30375 05D6C360
	v_max3_f32 v117, |v98|, |v99|, v117                        // 0000000078C8: D1D30375 05D6C762
	ds_write_b32 v122, v117                                    // 0000000078D0: D81A0000 0000757A
	s_waitcnt lgkmcnt(0)                                       // 0000000078D8: BF8CC07F
	s_barrier                                                  // 0000000078DC: BF8A0000
	ds_read_b32 v4, v123                                       // 0000000078E0: D86C0000 0400007B
	ds_read_b32 v5, v123 offset:64                             // 0000000078E8: D86C0040 0500007B
	ds_read_b32 v6, v123 offset:128                            // 0000000078F0: D86C0080 0600007B
	ds_read_b32 v7, v123 offset:192                            // 0000000078F8: D86C00C0 0700007B
	ds_read_b32 v8, v123 offset:256                            // 000000007900: D86C0100 0800007B
	ds_read_b32 v9, v123 offset:320                            // 000000007908: D86C0140 0900007B
	ds_read_b32 v10, v123 offset:384                           // 000000007910: D86C0180 0A00007B
	ds_read_b32 v11, v123 offset:448                           // 000000007918: D86C01C0 0B00007B
	ds_read_b32 v12, v123 offset:512                           // 000000007920: D86C0200 0C00007B
	ds_read_b32 v13, v123 offset:576                           // 000000007928: D86C0240 0D00007B
	ds_read_b32 v14, v123 offset:640                           // 000000007930: D86C0280 0E00007B
	ds_read_b32 v15, v123 offset:704                           // 000000007938: D86C02C0 0F00007B
	ds_read_b32 v16, v123 offset:768                           // 000000007940: D86C0300 1000007B
	ds_read_b32 v17, v123 offset:832                           // 000000007948: D86C0340 1100007B
	ds_read_b32 v18, v123 offset:896                           // 000000007950: D86C0380 1200007B
	ds_read_b32 v19, v123 offset:960                           // 000000007958: D86C03C0 1300007B
	s_waitcnt lgkmcnt(0)                                       // 000000007960: BF8CC07F
	s_barrier                                                  // 000000007964: BF8A0000
	v_max3_f32 v117, |v4|, |v5|, v117                          // 000000007968: D1D30375 05D60B04
	v_max3_f32 v117, |v6|, |v7|, v117                          // 000000007970: D1D30375 05D60F06
	v_max3_f32 v117, |v8|, |v9|, v117                          // 000000007978: D1D30375 05D61308
	v_max3_f32 v117, |v10|, |v11|, v117                        // 000000007980: D1D30375 05D6170A
	v_max3_f32 v117, |v12|, |v13|, v117                        // 000000007988: D1D30375 05D61B0C
	v_max3_f32 v117, |v14|, |v15|, v117                        // 000000007990: D1D30375 05D61F0E
	v_max3_f32 v117, |v16|, |v17|, v117                        // 000000007998: D1D30375 05D62310
	v_max3_f32 v117, |v18|, |v19|, v117                        // 0000000079A0: D1D30375 05D62712
	v_rcp_f32_e32 v117, v117                                   // 0000000079A8: 7EEA4575
	v_mov_b32_e32 v4, 0x43700000                               // 0000000079AC: 7E0802FF 43700000
	v_mul_f32_e32 v117, v4, v117                               // 0000000079B4: 0AEAEB04
	v_mov_b32_e32 v4, v117                                     // 0000000079B8: 7E080375
	v_mov_b32_e32 v5, v4                                       // 0000000079BC: 7E0A0304
	v_pk_mul_f32 v[72:73], v[4:5], v[72:73]                    // 0000000079C0: D3B14048 18029104
	v_pk_mul_f32 v[74:75], v[4:5], v[74:75]                    // 0000000079C8: D3B1404A 18029504
	v_cvt_pk_fp8_f32 v72, v72, v73                             // 0000000079D0: D2A20048 00029348
	v_cvt_pk_fp8_f32 v72, v74, v75 op_sel:[0,0,1]              // 0000000079D8: D2A24048 0002974A
	v_pk_mul_f32 v[96:97], v[4:5], v[96:97]                    // 0000000079E0: D3B14060 1802C104
	v_pk_mul_f32 v[98:99], v[4:5], v[98:99]                    // 0000000079E8: D3B14062 1802C504
	v_cvt_pk_fp8_f32 v96, v96, v97                             // 0000000079F0: D2A20060 0002C360
	v_cvt_pk_fp8_f32 v96, v98, v99 op_sel:[0,0,1]              // 0000000079F8: D2A24060 0002C762
	v_rcp_f32_e32 v117, v117                                   // 000000007A00: 7EEA4575
	v_mov_b32_e32 v118, 0x358637bd                             // 000000007A04: 7EEC02FF 358637BD
	v_max3_f32 v118, |v76|, |v77|, v118                        // 000000007A0C: D1D30376 05DA9B4C
	v_max3_f32 v118, |v78|, |v79|, v118                        // 000000007A14: D1D30376 05DA9F4E
	v_max3_f32 v118, |v100|, |v101|, v118                      // 000000007A1C: D1D30376 05DACB64
	v_max3_f32 v118, |v102|, |v103|, v118                      // 000000007A24: D1D30376 05DACF66
	ds_write_b32 v122, v118                                    // 000000007A2C: D81A0000 0000767A
	s_waitcnt lgkmcnt(0)                                       // 000000007A34: BF8CC07F
	s_barrier                                                  // 000000007A38: BF8A0000
	ds_read_b32 v4, v123                                       // 000000007A3C: D86C0000 0400007B
	ds_read_b32 v5, v123 offset:64                             // 000000007A44: D86C0040 0500007B
	ds_read_b32 v6, v123 offset:128                            // 000000007A4C: D86C0080 0600007B
	ds_read_b32 v7, v123 offset:192                            // 000000007A54: D86C00C0 0700007B
	ds_read_b32 v8, v123 offset:256                            // 000000007A5C: D86C0100 0800007B
	ds_read_b32 v9, v123 offset:320                            // 000000007A64: D86C0140 0900007B
	ds_read_b32 v10, v123 offset:384                           // 000000007A6C: D86C0180 0A00007B
	ds_read_b32 v11, v123 offset:448                           // 000000007A74: D86C01C0 0B00007B
	ds_read_b32 v12, v123 offset:512                           // 000000007A7C: D86C0200 0C00007B
	ds_read_b32 v13, v123 offset:576                           // 000000007A84: D86C0240 0D00007B
	ds_read_b32 v14, v123 offset:640                           // 000000007A8C: D86C0280 0E00007B
	ds_read_b32 v15, v123 offset:704                           // 000000007A94: D86C02C0 0F00007B
	ds_read_b32 v16, v123 offset:768                           // 000000007A9C: D86C0300 1000007B
	ds_read_b32 v17, v123 offset:832                           // 000000007AA4: D86C0340 1100007B
	ds_read_b32 v18, v123 offset:896                           // 000000007AAC: D86C0380 1200007B
	ds_read_b32 v19, v123 offset:960                           // 000000007AB4: D86C03C0 1300007B
	s_waitcnt lgkmcnt(0)                                       // 000000007ABC: BF8CC07F
	s_barrier                                                  // 000000007AC0: BF8A0000
	v_max3_f32 v118, |v4|, |v5|, v118                          // 000000007AC4: D1D30376 05DA0B04
	v_max3_f32 v118, |v6|, |v7|, v118                          // 000000007ACC: D1D30376 05DA0F06
	v_max3_f32 v118, |v8|, |v9|, v118                          // 000000007AD4: D1D30376 05DA1308
	v_max3_f32 v118, |v10|, |v11|, v118                        // 000000007ADC: D1D30376 05DA170A
	v_max3_f32 v118, |v12|, |v13|, v118                        // 000000007AE4: D1D30376 05DA1B0C
	v_max3_f32 v118, |v14|, |v15|, v118                        // 000000007AEC: D1D30376 05DA1F0E
	v_max3_f32 v118, |v16|, |v17|, v118                        // 000000007AF4: D1D30376 05DA2310
	v_max3_f32 v118, |v18|, |v19|, v118                        // 000000007AFC: D1D30376 05DA2712
	v_rcp_f32_e32 v118, v118                                   // 000000007B04: 7EEC4576
	v_mov_b32_e32 v4, 0x43700000                               // 000000007B08: 7E0802FF 43700000
	v_mul_f32_e32 v118, v4, v118                               // 000000007B10: 0AECED04
	v_mov_b32_e32 v4, v118                                     // 000000007B14: 7E080376
	v_mov_b32_e32 v5, v4                                       // 000000007B18: 7E0A0304
	v_pk_mul_f32 v[76:77], v[4:5], v[76:77]                    // 000000007B1C: D3B1404C 18029904
	v_pk_mul_f32 v[78:79], v[4:5], v[78:79]                    // 000000007B24: D3B1404E 18029D04
	v_cvt_pk_fp8_f32 v76, v76, v77                             // 000000007B2C: D2A2004C 00029B4C
	v_cvt_pk_fp8_f32 v76, v78, v79 op_sel:[0,0,1]              // 000000007B34: D2A2404C 00029F4E
	v_pk_mul_f32 v[100:101], v[4:5], v[100:101]                // 000000007B3C: D3B14064 1802C904
	v_pk_mul_f32 v[102:103], v[4:5], v[102:103]                // 000000007B44: D3B14066 1802CD04
	v_cvt_pk_fp8_f32 v100, v100, v101                          // 000000007B4C: D2A20064 0002CB64
	v_cvt_pk_fp8_f32 v100, v102, v103 op_sel:[0,0,1]           // 000000007B54: D2A24064 0002CF66
	v_rcp_f32_e32 v118, v118                                   // 000000007B5C: 7EEC4576
	v_mov_b32_e32 v119, 0x358637bd                             // 000000007B60: 7EEE02FF 358637BD
	v_max3_f32 v119, |v80|, |v81|, v119                        // 000000007B68: D1D30377 05DEA350
	v_max3_f32 v119, |v82|, |v83|, v119                        // 000000007B70: D1D30377 05DEA752
	v_max3_f32 v119, |v104|, |v105|, v119                      // 000000007B78: D1D30377 05DED368
	v_max3_f32 v119, |v106|, |v107|, v119                      // 000000007B80: D1D30377 05DED76A
	ds_write_b32 v122, v119                                    // 000000007B88: D81A0000 0000777A
	s_waitcnt lgkmcnt(0)                                       // 000000007B90: BF8CC07F
	s_barrier                                                  // 000000007B94: BF8A0000
	ds_read_b32 v4, v123                                       // 000000007B98: D86C0000 0400007B
	ds_read_b32 v5, v123 offset:64                             // 000000007BA0: D86C0040 0500007B
	ds_read_b32 v6, v123 offset:128                            // 000000007BA8: D86C0080 0600007B
	ds_read_b32 v7, v123 offset:192                            // 000000007BB0: D86C00C0 0700007B
	ds_read_b32 v8, v123 offset:256                            // 000000007BB8: D86C0100 0800007B
	ds_read_b32 v9, v123 offset:320                            // 000000007BC0: D86C0140 0900007B
	ds_read_b32 v10, v123 offset:384                           // 000000007BC8: D86C0180 0A00007B
	ds_read_b32 v11, v123 offset:448                           // 000000007BD0: D86C01C0 0B00007B
	ds_read_b32 v12, v123 offset:512                           // 000000007BD8: D86C0200 0C00007B
	ds_read_b32 v13, v123 offset:576                           // 000000007BE0: D86C0240 0D00007B
	ds_read_b32 v14, v123 offset:640                           // 000000007BE8: D86C0280 0E00007B
	ds_read_b32 v15, v123 offset:704                           // 000000007BF0: D86C02C0 0F00007B
	ds_read_b32 v16, v123 offset:768                           // 000000007BF8: D86C0300 1000007B
	ds_read_b32 v17, v123 offset:832                           // 000000007C00: D86C0340 1100007B
	ds_read_b32 v18, v123 offset:896                           // 000000007C08: D86C0380 1200007B
	ds_read_b32 v19, v123 offset:960                           // 000000007C10: D86C03C0 1300007B
	s_waitcnt lgkmcnt(0)                                       // 000000007C18: BF8CC07F
	s_barrier                                                  // 000000007C1C: BF8A0000
	v_max3_f32 v119, |v4|, |v5|, v119                          // 000000007C20: D1D30377 05DE0B04
	v_max3_f32 v119, |v6|, |v7|, v119                          // 000000007C28: D1D30377 05DE0F06
	v_max3_f32 v119, |v8|, |v9|, v119                          // 000000007C30: D1D30377 05DE1308
	v_max3_f32 v119, |v10|, |v11|, v119                        // 000000007C38: D1D30377 05DE170A
	v_max3_f32 v119, |v12|, |v13|, v119                        // 000000007C40: D1D30377 05DE1B0C
	v_max3_f32 v119, |v14|, |v15|, v119                        // 000000007C48: D1D30377 05DE1F0E
	v_max3_f32 v119, |v16|, |v17|, v119                        // 000000007C50: D1D30377 05DE2310
	v_max3_f32 v119, |v18|, |v19|, v119                        // 000000007C58: D1D30377 05DE2712
	v_rcp_f32_e32 v119, v119                                   // 000000007C60: 7EEE4577
	v_mov_b32_e32 v4, 0x43700000                               // 000000007C64: 7E0802FF 43700000
	v_mul_f32_e32 v119, v4, v119                               // 000000007C6C: 0AEEEF04
	v_mov_b32_e32 v4, v119                                     // 000000007C70: 7E080377
	v_mov_b32_e32 v5, v4                                       // 000000007C74: 7E0A0304
	v_pk_mul_f32 v[80:81], v[4:5], v[80:81]                    // 000000007C78: D3B14050 1802A104
	v_pk_mul_f32 v[82:83], v[4:5], v[82:83]                    // 000000007C80: D3B14052 1802A504
	v_cvt_pk_fp8_f32 v80, v80, v81                             // 000000007C88: D2A20050 0002A350
	v_cvt_pk_fp8_f32 v80, v82, v83 op_sel:[0,0,1]              // 000000007C90: D2A24050 0002A752
	v_pk_mul_f32 v[104:105], v[4:5], v[104:105]                // 000000007C98: D3B14068 1802D104
	v_pk_mul_f32 v[106:107], v[4:5], v[106:107]                // 000000007CA0: D3B1406A 1802D504
	v_cvt_pk_fp8_f32 v104, v104, v105                          // 000000007CA8: D2A20068 0002D368
	v_cvt_pk_fp8_f32 v104, v106, v107 op_sel:[0,0,1]           // 000000007CB0: D2A24068 0002D76A
	v_rcp_f32_e32 v119, v119                                   // 000000007CB8: 7EEE4577
	v_mov_b32_e32 v120, 0x358637bd                             // 000000007CBC: 7EF002FF 358637BD
	v_max3_f32 v120, |v84|, |v85|, v120                        // 000000007CC4: D1D30378 05E2AB54
	v_max3_f32 v120, |v86|, |v87|, v120                        // 000000007CCC: D1D30378 05E2AF56
	v_max3_f32 v120, |v108|, |v109|, v120                      // 000000007CD4: D1D30378 05E2DB6C
	v_max3_f32 v120, |v110|, |v111|, v120                      // 000000007CDC: D1D30378 05E2DF6E
	ds_write_b32 v122, v120                                    // 000000007CE4: D81A0000 0000787A
	s_waitcnt lgkmcnt(0)                                       // 000000007CEC: BF8CC07F
	s_barrier                                                  // 000000007CF0: BF8A0000
	ds_read_b32 v4, v123                                       // 000000007CF4: D86C0000 0400007B
	ds_read_b32 v5, v123 offset:64                             // 000000007CFC: D86C0040 0500007B
	ds_read_b32 v6, v123 offset:128                            // 000000007D04: D86C0080 0600007B
	ds_read_b32 v7, v123 offset:192                            // 000000007D0C: D86C00C0 0700007B
	ds_read_b32 v8, v123 offset:256                            // 000000007D14: D86C0100 0800007B
	ds_read_b32 v9, v123 offset:320                            // 000000007D1C: D86C0140 0900007B
	ds_read_b32 v10, v123 offset:384                           // 000000007D24: D86C0180 0A00007B
	ds_read_b32 v11, v123 offset:448                           // 000000007D2C: D86C01C0 0B00007B
	ds_read_b32 v12, v123 offset:512                           // 000000007D34: D86C0200 0C00007B
	ds_read_b32 v13, v123 offset:576                           // 000000007D3C: D86C0240 0D00007B
	ds_read_b32 v14, v123 offset:640                           // 000000007D44: D86C0280 0E00007B
	ds_read_b32 v15, v123 offset:704                           // 000000007D4C: D86C02C0 0F00007B
	ds_read_b32 v16, v123 offset:768                           // 000000007D54: D86C0300 1000007B
	ds_read_b32 v17, v123 offset:832                           // 000000007D5C: D86C0340 1100007B
	ds_read_b32 v18, v123 offset:896                           // 000000007D64: D86C0380 1200007B
	ds_read_b32 v19, v123 offset:960                           // 000000007D6C: D86C03C0 1300007B
	s_waitcnt lgkmcnt(0)                                       // 000000007D74: BF8CC07F
	s_barrier                                                  // 000000007D78: BF8A0000
	v_max3_f32 v120, |v4|, |v5|, v120                          // 000000007D7C: D1D30378 05E20B04
	v_max3_f32 v120, |v6|, |v7|, v120                          // 000000007D84: D1D30378 05E20F06
	v_max3_f32 v120, |v8|, |v9|, v120                          // 000000007D8C: D1D30378 05E21308
	v_max3_f32 v120, |v10|, |v11|, v120                        // 000000007D94: D1D30378 05E2170A
	v_max3_f32 v120, |v12|, |v13|, v120                        // 000000007D9C: D1D30378 05E21B0C
	v_max3_f32 v120, |v14|, |v15|, v120                        // 000000007DA4: D1D30378 05E21F0E
	v_max3_f32 v120, |v16|, |v17|, v120                        // 000000007DAC: D1D30378 05E22310
	v_max3_f32 v120, |v18|, |v19|, v120                        // 000000007DB4: D1D30378 05E22712
	v_rcp_f32_e32 v120, v120                                   // 000000007DBC: 7EF04578
	v_mov_b32_e32 v4, 0x43700000                               // 000000007DC0: 7E0802FF 43700000
	v_mul_f32_e32 v120, v4, v120                               // 000000007DC8: 0AF0F104
	v_mov_b32_e32 v4, v120                                     // 000000007DCC: 7E080378
	v_mov_b32_e32 v5, v4                                       // 000000007DD0: 7E0A0304
	v_pk_mul_f32 v[84:85], v[4:5], v[84:85]                    // 000000007DD4: D3B14054 1802A904
	v_pk_mul_f32 v[86:87], v[4:5], v[86:87]                    // 000000007DDC: D3B14056 1802AD04
	v_cvt_pk_fp8_f32 v84, v84, v85                             // 000000007DE4: D2A20054 0002AB54
	v_cvt_pk_fp8_f32 v84, v86, v87 op_sel:[0,0,1]              // 000000007DEC: D2A24054 0002AF56
	v_pk_mul_f32 v[108:109], v[4:5], v[108:109]                // 000000007DF4: D3B1406C 1802D904
	v_pk_mul_f32 v[110:111], v[4:5], v[110:111]                // 000000007DFC: D3B1406E 1802DD04
	v_cvt_pk_fp8_f32 v108, v108, v109                          // 000000007E04: D2A2006C 0002DB6C
	v_cvt_pk_fp8_f32 v108, v110, v111 op_sel:[0,0,1]           // 000000007E0C: D2A2406C 0002DF6E
	v_rcp_f32_e32 v120, v120                                   // 000000007E14: 7EF04578
	v_mov_b32_e32 v121, 0x358637bd                             // 000000007E18: 7EF202FF 358637BD
	v_max3_f32 v121, |v88|, |v89|, v121                        // 000000007E20: D1D30379 05E6B358
	v_max3_f32 v121, |v90|, |v91|, v121                        // 000000007E28: D1D30379 05E6B75A
	v_max3_f32 v121, |v112|, |v113|, v121                      // 000000007E30: D1D30379 05E6E370
	v_max3_f32 v121, |v114|, |v115|, v121                      // 000000007E38: D1D30379 05E6E772
	ds_write_b32 v122, v121                                    // 000000007E40: D81A0000 0000797A
	s_waitcnt lgkmcnt(0)                                       // 000000007E48: BF8CC07F
	s_barrier                                                  // 000000007E4C: BF8A0000
	ds_read_b32 v4, v123                                       // 000000007E50: D86C0000 0400007B
	ds_read_b32 v5, v123 offset:64                             // 000000007E58: D86C0040 0500007B
	ds_read_b32 v6, v123 offset:128                            // 000000007E60: D86C0080 0600007B
	ds_read_b32 v7, v123 offset:192                            // 000000007E68: D86C00C0 0700007B
	ds_read_b32 v8, v123 offset:256                            // 000000007E70: D86C0100 0800007B
	ds_read_b32 v9, v123 offset:320                            // 000000007E78: D86C0140 0900007B
	ds_read_b32 v10, v123 offset:384                           // 000000007E80: D86C0180 0A00007B
	ds_read_b32 v11, v123 offset:448                           // 000000007E88: D86C01C0 0B00007B
	ds_read_b32 v12, v123 offset:512                           // 000000007E90: D86C0200 0C00007B
	ds_read_b32 v13, v123 offset:576                           // 000000007E98: D86C0240 0D00007B
	ds_read_b32 v14, v123 offset:640                           // 000000007EA0: D86C0280 0E00007B
	ds_read_b32 v15, v123 offset:704                           // 000000007EA8: D86C02C0 0F00007B
	ds_read_b32 v16, v123 offset:768                           // 000000007EB0: D86C0300 1000007B
	ds_read_b32 v17, v123 offset:832                           // 000000007EB8: D86C0340 1100007B
	ds_read_b32 v18, v123 offset:896                           // 000000007EC0: D86C0380 1200007B
	ds_read_b32 v19, v123 offset:960                           // 000000007EC8: D86C03C0 1300007B
	s_waitcnt lgkmcnt(0)                                       // 000000007ED0: BF8CC07F
	s_barrier                                                  // 000000007ED4: BF8A0000
	v_max3_f32 v121, |v4|, |v5|, v121                          // 000000007ED8: D1D30379 05E60B04
	v_max3_f32 v121, |v6|, |v7|, v121                          // 000000007EE0: D1D30379 05E60F06
	v_max3_f32 v121, |v8|, |v9|, v121                          // 000000007EE8: D1D30379 05E61308
	v_max3_f32 v121, |v10|, |v11|, v121                        // 000000007EF0: D1D30379 05E6170A
	v_max3_f32 v121, |v12|, |v13|, v121                        // 000000007EF8: D1D30379 05E61B0C
	v_max3_f32 v121, |v14|, |v15|, v121                        // 000000007F00: D1D30379 05E61F0E
	v_max3_f32 v121, |v16|, |v17|, v121                        // 000000007F08: D1D30379 05E62310
	v_max3_f32 v121, |v18|, |v19|, v121                        // 000000007F10: D1D30379 05E62712
	v_rcp_f32_e32 v121, v121                                   // 000000007F18: 7EF24579
	v_mov_b32_e32 v4, 0x43700000                               // 000000007F1C: 7E0802FF 43700000
	v_mul_f32_e32 v121, v4, v121                               // 000000007F24: 0AF2F304
	v_mov_b32_e32 v4, v121                                     // 000000007F28: 7E080379
	v_mov_b32_e32 v5, v4                                       // 000000007F2C: 7E0A0304
	v_pk_mul_f32 v[88:89], v[4:5], v[88:89]                    // 000000007F30: D3B14058 1802B104
	v_pk_mul_f32 v[90:91], v[4:5], v[90:91]                    // 000000007F38: D3B1405A 1802B504
	v_cvt_pk_fp8_f32 v88, v88, v89                             // 000000007F40: D2A20058 0002B358
	v_cvt_pk_fp8_f32 v88, v90, v91 op_sel:[0,0,1]              // 000000007F48: D2A24058 0002B75A
	v_pk_mul_f32 v[112:113], v[4:5], v[112:113]                // 000000007F50: D3B14070 1802E104
	v_pk_mul_f32 v[114:115], v[4:5], v[114:115]                // 000000007F58: D3B14072 1802E504
	v_cvt_pk_fp8_f32 v112, v112, v113                          // 000000007F60: D2A20070 0002E370
	v_cvt_pk_fp8_f32 v112, v114, v115 op_sel:[0,0,1]           // 000000007F68: D2A24070 0002E772
	v_rcp_f32_e32 v121, v121                                   // 000000007F70: 7EF24579
	v_lshrrev_b32_e32 v4, 5, v0                                // 000000007F74: 20080085
	v_mul_lo_u32 v20, 34, v4                                   // 000000007F78: D2850014 000208A2
	v_and_b32_e32 v4, 31, v0                                   // 000000007F80: 2608009F
	v_lshrrev_b32_e32 v5, 4, v4                                // 000000007F84: 200A0884
	v_add_u32_e32 v20, v5, v20                                 // 000000007F88: 68282905
	v_and_b32_e32 v4, 15, v0                                   // 000000007F8C: 2608008F
	v_mul_lo_u32 v5, 2, v4                                     // 000000007F90: D2850005 00020882
	v_add_u32_e32 v20, v5, v20                                 // 000000007F98: 68282905
	s_mul_i32 s60, s7, 0x44                                    // 000000007F9C: 923CFF07 00000044
	v_add_u32_e32 v20, s60, v20                                // 000000007FA4: 6828283C
	v_lshlrev_b32_e32 v20, 2, v20                              // 000000007FA8: 24282882
	ds_write_b32 v20, v68                                      // 000000007FAC: D81A0000 00004414
	ds_write_b32 v20, v72 offset:2176                          // 000000007FB4: D81A0880 00004814
	ds_write_b32 v20, v76 offset:4352                          // 000000007FBC: D81A1100 00004C14
	ds_write_b32 v20, v80 offset:6528                          // 000000007FC4: D81A1980 00005014
	ds_write_b32 v20, v84 offset:8704                          // 000000007FCC: D81A2200 00005414
	ds_write_b32 v20, v88 offset:10880                         // 000000007FD4: D81A2A80 00005814
	ds_write_b32 v20, v92 offset:1088                          // 000000007FDC: D81A0440 00005C14
	ds_write_b32 v20, v96 offset:3264                          // 000000007FE4: D81A0CC0 00006014
	ds_write_b32 v20, v100 offset:5440                         // 000000007FEC: D81A1540 00006414
	ds_write_b32 v20, v104 offset:7616                         // 000000007FF4: D81A1DC0 00006814
	ds_write_b32 v20, v108 offset:9792                         // 000000007FFC: D81A2640 00006C14
	ds_write_b32 v20, v112 offset:11968                        // 000000008004: D81A2EC0 00007014
	v_lshrrev_b32_e32 v4, 5, v0                                // 00000000800C: 20080085
	v_xor_b32_e32 v5, 1, v4                                    // 000000008010: 2A0A0881
	s_mul_i32 s60, s65, 1                                      // 000000008014: 923C8141
	s_cmp_eq_u32 s88, 0                                        // 000000008018: BF068058
	s_cselect_b32 s61, 1, 8                                    // 00000000801C: 853D8881
	s_mul_i32 s60, s61, s60                                    // 000000008020: 923C3C3D
	v_readlane_b32 s82, v3, 0                                  // 000000008024: D2890052 00010103
	s_lshr_b32 s61, s82, 24                                    // 00000000802C: 8F3D9852
	s_and_b32 s82, s82, 0xffffff                               // 000000008030: 8652FF52 00FFFFFF
	s_mul_i32 s82, s82, s71                                    // 000000008038: 92524752
	s_mul_i32 s61, s60, s61                                    // 00000000803C: 923D3D3C
	s_add_u32 s82, s82, s61                                    // 000000008040: 80523D52
	v_mul_lo_u32 v6, v5, s82                                   // 000000008044: D2850006 0000A505
	v_readlane_b32 s82, v3, 1                                  // 00000000804C: D2890052 00010303
	s_lshr_b32 s61, s82, 24                                    // 000000008054: 8F3D9852
	s_and_b32 s82, s82, 0xffffff                               // 000000008058: 8652FF52 00FFFFFF
	s_mul_i32 s82, s82, s71                                    // 000000008060: 92524752
	s_mul_i32 s61, s60, s61                                    // 000000008064: 923D3D3C
	s_add_u32 s82, s82, s61                                    // 000000008068: 80523D52
	v_mul_lo_u32 v7, v4, s82                                   // 00000000806C: D2850007 0000A504
	v_add_u32_e32 v54, v6, v7                                  // 000000008074: 686C0F06
	v_readlane_b32 s82, v3, 2                                  // 000000008078: D2890052 00010503
	s_lshr_b32 s61, s82, 24                                    // 000000008080: 8F3D9852
	s_and_b32 s82, s82, 0xffffff                               // 000000008084: 8652FF52 00FFFFFF
	s_mul_i32 s82, s82, s71                                    // 00000000808C: 92524752
	s_mul_i32 s61, s60, s61                                    // 000000008090: 923D3D3C
	s_add_u32 s82, s82, s61                                    // 000000008094: 80523D52
	v_mul_lo_u32 v6, v5, s82                                   // 000000008098: D2850006 0000A505
	v_readlane_b32 s82, v3, 3                                  // 0000000080A0: D2890052 00010703
	s_lshr_b32 s61, s82, 24                                    // 0000000080A8: 8F3D9852
	s_and_b32 s82, s82, 0xffffff                               // 0000000080AC: 8652FF52 00FFFFFF
	s_mul_i32 s82, s82, s71                                    // 0000000080B4: 92524752
	s_mul_i32 s61, s60, s61                                    // 0000000080B8: 923D3D3C
	s_add_u32 s82, s82, s61                                    // 0000000080BC: 80523D52
	v_mul_lo_u32 v7, v4, s82                                   // 0000000080C0: D2850007 0000A504
	v_add_u32_e32 v55, v6, v7                                  // 0000000080C8: 686E0F06
	v_readlane_b32 s82, v3, 4                                  // 0000000080CC: D2890052 00010903
	s_lshr_b32 s61, s82, 24                                    // 0000000080D4: 8F3D9852
	s_and_b32 s82, s82, 0xffffff                               // 0000000080D8: 8652FF52 00FFFFFF
	s_mul_i32 s82, s82, s71                                    // 0000000080E0: 92524752
	s_mul_i32 s61, s60, s61                                    // 0000000080E4: 923D3D3C
	s_add_u32 s82, s82, s61                                    // 0000000080E8: 80523D52
	v_mul_lo_u32 v6, v5, s82                                   // 0000000080EC: D2850006 0000A505
	v_readlane_b32 s82, v3, 5                                  // 0000000080F4: D2890052 00010B03
	s_lshr_b32 s61, s82, 24                                    // 0000000080FC: 8F3D9852
	s_and_b32 s82, s82, 0xffffff                               // 000000008100: 8652FF52 00FFFFFF
	s_mul_i32 s82, s82, s71                                    // 000000008108: 92524752
	s_mul_i32 s61, s60, s61                                    // 00000000810C: 923D3D3C
	s_add_u32 s82, s82, s61                                    // 000000008110: 80523D52
	v_mul_lo_u32 v7, v4, s82                                   // 000000008114: D2850007 0000A504
	v_add_u32_e32 v56, v6, v7                                  // 00000000811C: 68700F06
	v_readlane_b32 s82, v3, 6                                  // 000000008120: D2890052 00010D03
	s_lshr_b32 s61, s82, 24                                    // 000000008128: 8F3D9852
	s_and_b32 s82, s82, 0xffffff                               // 00000000812C: 8652FF52 00FFFFFF
	s_mul_i32 s82, s82, s71                                    // 000000008134: 92524752
	s_mul_i32 s61, s60, s61                                    // 000000008138: 923D3D3C
	s_add_u32 s82, s82, s61                                    // 00000000813C: 80523D52
	v_mul_lo_u32 v6, v5, s82                                   // 000000008140: D2850006 0000A505
	v_readlane_b32 s82, v3, 7                                  // 000000008148: D2890052 00010F03
	s_lshr_b32 s61, s82, 24                                    // 000000008150: 8F3D9852
	s_and_b32 s82, s82, 0xffffff                               // 000000008154: 8652FF52 00FFFFFF
	s_mul_i32 s82, s82, s71                                    // 00000000815C: 92524752
	s_mul_i32 s61, s60, s61                                    // 000000008160: 923D3D3C
	s_add_u32 s82, s82, s61                                    // 000000008164: 80523D52
	v_mul_lo_u32 v7, v4, s82                                   // 000000008168: D2850007 0000A504
	v_add_u32_e32 v57, v6, v7                                  // 000000008170: 68720F06
	v_readlane_b32 s82, v3, 8                                  // 000000008174: D2890052 00011103
	s_lshr_b32 s61, s82, 24                                    // 00000000817C: 8F3D9852
	s_and_b32 s82, s82, 0xffffff                               // 000000008180: 8652FF52 00FFFFFF
	s_mul_i32 s82, s82, s71                                    // 000000008188: 92524752
	s_mul_i32 s61, s60, s61                                    // 00000000818C: 923D3D3C
	s_add_u32 s82, s82, s61                                    // 000000008190: 80523D52
	v_mul_lo_u32 v6, v5, s82                                   // 000000008194: D2850006 0000A505
	v_readlane_b32 s82, v3, 9                                  // 00000000819C: D2890052 00011303
	s_lshr_b32 s61, s82, 24                                    // 0000000081A4: 8F3D9852
	s_and_b32 s82, s82, 0xffffff                               // 0000000081A8: 8652FF52 00FFFFFF
	s_mul_i32 s82, s82, s71                                    // 0000000081B0: 92524752
	s_mul_i32 s61, s60, s61                                    // 0000000081B4: 923D3D3C
	s_add_u32 s82, s82, s61                                    // 0000000081B8: 80523D52
	v_mul_lo_u32 v7, v4, s82                                   // 0000000081BC: D2850007 0000A504
	v_add_u32_e32 v58, v6, v7                                  // 0000000081C4: 68740F06
	v_readlane_b32 s82, v3, 10                                 // 0000000081C8: D2890052 00011503
	s_lshr_b32 s61, s82, 24                                    // 0000000081D0: 8F3D9852
	s_and_b32 s82, s82, 0xffffff                               // 0000000081D4: 8652FF52 00FFFFFF
	s_mul_i32 s82, s82, s71                                    // 0000000081DC: 92524752
	s_mul_i32 s61, s60, s61                                    // 0000000081E0: 923D3D3C
	s_add_u32 s82, s82, s61                                    // 0000000081E4: 80523D52
	v_mul_lo_u32 v6, v5, s82                                   // 0000000081E8: D2850006 0000A505
	v_readlane_b32 s82, v3, 11                                 // 0000000081F0: D2890052 00011703
	s_lshr_b32 s61, s82, 24                                    // 0000000081F8: 8F3D9852
	s_and_b32 s82, s82, 0xffffff                               // 0000000081FC: 8652FF52 00FFFFFF
	s_mul_i32 s82, s82, s71                                    // 000000008204: 92524752
	s_mul_i32 s61, s60, s61                                    // 000000008208: 923D3D3C
	s_add_u32 s82, s82, s61                                    // 00000000820C: 80523D52
	v_mul_lo_u32 v7, v4, s82                                   // 000000008210: D2850007 0000A504
	v_add_u32_e32 v59, v6, v7                                  // 000000008218: 68760F06
	v_readlane_b32 s82, v3, 12                                 // 00000000821C: D2890052 00011903
	s_lshr_b32 s61, s82, 24                                    // 000000008224: 8F3D9852
	s_and_b32 s82, s82, 0xffffff                               // 000000008228: 8652FF52 00FFFFFF
	s_mul_i32 s82, s82, s71                                    // 000000008230: 92524752
	s_mul_i32 s61, s60, s61                                    // 000000008234: 923D3D3C
	s_add_u32 s82, s82, s61                                    // 000000008238: 80523D52
	v_mul_lo_u32 v6, v5, s82                                   // 00000000823C: D2850006 0000A505
	v_readlane_b32 s82, v3, 13                                 // 000000008244: D2890052 00011B03
	s_lshr_b32 s61, s82, 24                                    // 00000000824C: 8F3D9852
	s_and_b32 s82, s82, 0xffffff                               // 000000008250: 8652FF52 00FFFFFF
	s_mul_i32 s82, s82, s71                                    // 000000008258: 92524752
	s_mul_i32 s61, s60, s61                                    // 00000000825C: 923D3D3C
	s_add_u32 s82, s82, s61                                    // 000000008260: 80523D52
	v_mul_lo_u32 v7, v4, s82                                   // 000000008264: D2850007 0000A504
	v_add_u32_e32 v60, v6, v7                                  // 00000000826C: 68780F06
	v_readlane_b32 s82, v3, 14                                 // 000000008270: D2890052 00011D03
	s_lshr_b32 s61, s82, 24                                    // 000000008278: 8F3D9852
	s_and_b32 s82, s82, 0xffffff                               // 00000000827C: 8652FF52 00FFFFFF
	s_mul_i32 s82, s82, s71                                    // 000000008284: 92524752
	s_mul_i32 s61, s60, s61                                    // 000000008288: 923D3D3C
	s_add_u32 s82, s82, s61                                    // 00000000828C: 80523D52
	v_mul_lo_u32 v6, v5, s82                                   // 000000008290: D2850006 0000A505
	v_readlane_b32 s82, v3, 15                                 // 000000008298: D2890052 00011F03
	s_lshr_b32 s61, s82, 24                                    // 0000000082A0: 8F3D9852
	s_and_b32 s82, s82, 0xffffff                               // 0000000082A4: 8652FF52 00FFFFFF
	s_mul_i32 s82, s82, s71                                    // 0000000082AC: 92524752
	s_mul_i32 s61, s60, s61                                    // 0000000082B0: 923D3D3C
	s_add_u32 s82, s82, s61                                    // 0000000082B4: 80523D52
	v_mul_lo_u32 v7, v4, s82                                   // 0000000082B8: D2850007 0000A504
	v_add_u32_e32 v61, v6, v7                                  // 0000000082C0: 687A0F06
	v_readlane_b32 s82, v3, 16                                 // 0000000082C4: D2890052 00012103
	s_lshr_b32 s61, s82, 24                                    // 0000000082CC: 8F3D9852
	s_and_b32 s82, s82, 0xffffff                               // 0000000082D0: 8652FF52 00FFFFFF
	s_mul_i32 s82, s82, s71                                    // 0000000082D8: 92524752
	s_mul_i32 s61, s60, s61                                    // 0000000082DC: 923D3D3C
	s_add_u32 s82, s82, s61                                    // 0000000082E0: 80523D52
	v_mul_lo_u32 v6, v5, s82                                   // 0000000082E4: D2850006 0000A505
	v_readlane_b32 s82, v3, 17                                 // 0000000082EC: D2890052 00012303
	s_lshr_b32 s61, s82, 24                                    // 0000000082F4: 8F3D9852
	s_and_b32 s82, s82, 0xffffff                               // 0000000082F8: 8652FF52 00FFFFFF
	s_mul_i32 s82, s82, s71                                    // 000000008300: 92524752
	s_mul_i32 s61, s60, s61                                    // 000000008304: 923D3D3C
	s_add_u32 s82, s82, s61                                    // 000000008308: 80523D52
	v_mul_lo_u32 v7, v4, s82                                   // 00000000830C: D2850007 0000A504
	v_add_u32_e32 v62, v6, v7                                  // 000000008314: 687C0F06
	v_readlane_b32 s82, v3, 18                                 // 000000008318: D2890052 00012503
	s_lshr_b32 s61, s82, 24                                    // 000000008320: 8F3D9852
	s_and_b32 s82, s82, 0xffffff                               // 000000008324: 8652FF52 00FFFFFF
	s_mul_i32 s82, s82, s71                                    // 00000000832C: 92524752
	s_mul_i32 s61, s60, s61                                    // 000000008330: 923D3D3C
	s_add_u32 s82, s82, s61                                    // 000000008334: 80523D52
	v_mul_lo_u32 v6, v5, s82                                   // 000000008338: D2850006 0000A505
	v_readlane_b32 s82, v3, 19                                 // 000000008340: D2890052 00012703
	s_lshr_b32 s61, s82, 24                                    // 000000008348: 8F3D9852
	s_and_b32 s82, s82, 0xffffff                               // 00000000834C: 8652FF52 00FFFFFF
	s_mul_i32 s82, s82, s71                                    // 000000008354: 92524752
	s_mul_i32 s61, s60, s61                                    // 000000008358: 923D3D3C
	s_add_u32 s82, s82, s61                                    // 00000000835C: 80523D52
	v_mul_lo_u32 v7, v4, s82                                   // 000000008360: D2850007 0000A504
	v_add_u32_e32 v63, v6, v7                                  // 000000008368: 687E0F06
	v_readlane_b32 s82, v3, 20                                 // 00000000836C: D2890052 00012903
	s_lshr_b32 s61, s82, 24                                    // 000000008374: 8F3D9852
	s_and_b32 s82, s82, 0xffffff                               // 000000008378: 8652FF52 00FFFFFF
	s_mul_i32 s82, s82, s71                                    // 000000008380: 92524752
	s_mul_i32 s61, s60, s61                                    // 000000008384: 923D3D3C
	s_add_u32 s82, s82, s61                                    // 000000008388: 80523D52
	v_mul_lo_u32 v6, v5, s82                                   // 00000000838C: D2850006 0000A505
	v_readlane_b32 s82, v3, 21                                 // 000000008394: D2890052 00012B03
	s_lshr_b32 s61, s82, 24                                    // 00000000839C: 8F3D9852
	s_and_b32 s82, s82, 0xffffff                               // 0000000083A0: 8652FF52 00FFFFFF
	s_mul_i32 s82, s82, s71                                    // 0000000083A8: 92524752
	s_mul_i32 s61, s60, s61                                    // 0000000083AC: 923D3D3C
	s_add_u32 s82, s82, s61                                    // 0000000083B0: 80523D52
	v_mul_lo_u32 v7, v4, s82                                   // 0000000083B4: D2850007 0000A504
	v_add_u32_e32 v64, v6, v7                                  // 0000000083BC: 68800F06
	v_readlane_b32 s82, v3, 22                                 // 0000000083C0: D2890052 00012D03
	s_lshr_b32 s61, s82, 24                                    // 0000000083C8: 8F3D9852
	s_and_b32 s82, s82, 0xffffff                               // 0000000083CC: 8652FF52 00FFFFFF
	s_mul_i32 s82, s82, s71                                    // 0000000083D4: 92524752
	s_mul_i32 s61, s60, s61                                    // 0000000083D8: 923D3D3C
	s_add_u32 s82, s82, s61                                    // 0000000083DC: 80523D52
	v_mul_lo_u32 v6, v5, s82                                   // 0000000083E0: D2850006 0000A505
	v_readlane_b32 s82, v3, 23                                 // 0000000083E8: D2890052 00012F03
	s_lshr_b32 s61, s82, 24                                    // 0000000083F0: 8F3D9852
	s_and_b32 s82, s82, 0xffffff                               // 0000000083F4: 8652FF52 00FFFFFF
	s_mul_i32 s82, s82, s71                                    // 0000000083FC: 92524752
	s_mul_i32 s61, s60, s61                                    // 000000008400: 923D3D3C
	s_add_u32 s82, s82, s61                                    // 000000008404: 80523D52
	v_mul_lo_u32 v7, v4, s82                                   // 000000008408: D2850007 0000A504
	v_add_u32_e32 v65, v6, v7                                  // 000000008410: 68820F06
	v_and_b32_e32 v4, 31, v0                                   // 000000008414: 2608009F
	v_lshrrev_b32_e32 v4, 1, v4                                // 000000008418: 20080881
	s_cmp_eq_u32 s88, 0                                        // 00000000841C: BF068058
	s_cselect_b32 s61, 2, 4                                    // 000000008420: 853D8482
	v_mul_lo_u32 v4, v4, s61                                   // 000000008424: D2850004 00007B04
	v_and_b32_e64 v5, v0, 1                                    // 00000000842C: D1130005 00010300
	v_add_u32_e32 v4, v4, v5                                   // 000000008434: 68080B04
	v_lshlrev_b32_e32 v4, 2, v4                                // 000000008438: 24080882
	v_add_u32_e32 v54, v54, v4                                 // 00000000843C: 686C0936
	v_add_u32_e32 v55, v55, v4                                 // 000000008440: 686E0937
	v_add_u32_e32 v56, v56, v4                                 // 000000008444: 68700938
	v_add_u32_e32 v57, v57, v4                                 // 000000008448: 68720939
	v_add_u32_e32 v58, v58, v4                                 // 00000000844C: 6874093A
	v_add_u32_e32 v59, v59, v4                                 // 000000008450: 6876093B
	v_add_u32_e32 v60, v60, v4                                 // 000000008454: 6878093C
	v_add_u32_e32 v61, v61, v4                                 // 000000008458: 687A093D
	v_add_u32_e32 v62, v62, v4                                 // 00000000845C: 687C093E
	v_add_u32_e32 v63, v63, v4                                 // 000000008460: 687E093F
	v_add_u32_e32 v64, v64, v4                                 // 000000008464: 68800940
	v_add_u32_e32 v65, v65, v4                                 // 000000008468: 68820941
	s_waitcnt lgkmcnt(0)                                       // 00000000846C: BF8CC07F
	s_barrier                                                  // 000000008470: BF8A0000
	ds_read_b32 v68, v21                                       // 000000008474: D86C0000 44000015
	ds_read_b32 v69, v21 offset:64                             // 00000000847C: D86C0040 45000015
	ds_read_b32 v70, v21 offset:2176                           // 000000008484: D86C0880 46000015
	ds_read_b32 v71, v21 offset:2240                           // 00000000848C: D86C08C0 47000015
	ds_read_b32 v72, v21 offset:4352                           // 000000008494: D86C1100 48000015
	ds_read_b32 v73, v21 offset:4416                           // 00000000849C: D86C1140 49000015
	ds_read_b32 v74, v21 offset:6528                           // 0000000084A4: D86C1980 4A000015
	ds_read_b32 v75, v21 offset:6592                           // 0000000084AC: D86C19C0 4B000015
	ds_read_b32 v76, v21 offset:8704                           // 0000000084B4: D86C2200 4C000015
	ds_read_b32 v77, v21 offset:8768                           // 0000000084BC: D86C2240 4D000015
	ds_read_b32 v78, v21 offset:10880                          // 0000000084C4: D86C2A80 4E000015
	ds_read_b32 v79, v21 offset:10944                          // 0000000084CC: D86C2AC0 4F000015
	s_waitcnt lgkmcnt(0)                                       // 0000000084D4: BF8CC07F
	s_mov_b32 s36, -1                                          // 0000000084D8: BEA400C1
	s_mov_b32 s37, -1                                          // 0000000084DC: BEA500C1
	v_mov_b32_e32 v7, 0                                        // 0000000084E0: 7E0E0280
	s_or_b32 s9, s9, 0x40000                                   // 0000000084E4: 8709FF09 00040000
	s_mov_b64 exec, s[36:37]                                   // 0000000084EC: BEFE0124
	v_mov_b32_e32 v6, v54                                      // 0000000084F0: 7E0C0336
	s_mov_b64 s[60:61], 0                                      // 0000000084F4: BEBC0180
	v_readlane_b32 s82, v3, 0                                  // 0000000084F8: D2890052 00010103
	s_and_b32 s82, s82, 0xffffff                               // 000000008500: 8652FF52 00FFFFFF
	s_cmp_lt_u32 s82, s66                                      // 000000008508: BF0A4252
	s_cselect_b32 s20, s36, s60                                // 00000000850C: 85143C24
	v_readlane_b32 s82, v3, 1                                  // 000000008510: D2890052 00010303
	s_and_b32 s82, s82, 0xffffff                               // 000000008518: 8652FF52 00FFFFFF
	s_cmp_lt_u32 s82, s66                                      // 000000008520: BF0A4252
	s_cselect_b32 s21, s36, s60                                // 000000008524: 85153C24
	s_mov_b64 exec, s[20:21]                                   // 000000008528: BEFE0114
	buffer_store_dword v68, v6, s[8:11], 0 offen               // 00000000852C: E0701000 80024406
	s_mov_b64 exec, s[36:37]                                   // 000000008534: BEFE0124
	v_mov_b32_e32 v6, v55                                      // 000000008538: 7E0C0337
	s_mov_b64 s[60:61], 0                                      // 00000000853C: BEBC0180
	v_readlane_b32 s82, v3, 2                                  // 000000008540: D2890052 00010503
	s_and_b32 s82, s82, 0xffffff                               // 000000008548: 8652FF52 00FFFFFF
	s_cmp_lt_u32 s82, s66                                      // 000000008550: BF0A4252
	s_cselect_b32 s20, s36, s60                                // 000000008554: 85143C24
	v_readlane_b32 s82, v3, 3                                  // 000000008558: D2890052 00010703
	s_and_b32 s82, s82, 0xffffff                               // 000000008560: 8652FF52 00FFFFFF
	s_cmp_lt_u32 s82, s66                                      // 000000008568: BF0A4252
	s_cselect_b32 s21, s36, s60                                // 00000000856C: 85153C24
	s_mov_b64 exec, s[20:21]                                   // 000000008570: BEFE0114
	buffer_store_dword v69, v6, s[8:11], 0 offen               // 000000008574: E0701000 80024506
	s_mov_b64 exec, s[36:37]                                   // 00000000857C: BEFE0124
	v_mov_b32_e32 v6, v56                                      // 000000008580: 7E0C0338
	s_mov_b64 s[60:61], 0                                      // 000000008584: BEBC0180
	v_readlane_b32 s82, v3, 4                                  // 000000008588: D2890052 00010903
	s_and_b32 s82, s82, 0xffffff                               // 000000008590: 8652FF52 00FFFFFF
	s_cmp_lt_u32 s82, s66                                      // 000000008598: BF0A4252
	s_cselect_b32 s20, s36, s60                                // 00000000859C: 85143C24
	v_readlane_b32 s82, v3, 5                                  // 0000000085A0: D2890052 00010B03
	s_and_b32 s82, s82, 0xffffff                               // 0000000085A8: 8652FF52 00FFFFFF
	s_cmp_lt_u32 s82, s66                                      // 0000000085B0: BF0A4252
	s_cselect_b32 s21, s36, s60                                // 0000000085B4: 85153C24
	s_mov_b64 exec, s[20:21]                                   // 0000000085B8: BEFE0114
	buffer_store_dword v70, v6, s[8:11], 0 offen               // 0000000085BC: E0701000 80024606
	s_mov_b64 exec, s[36:37]                                   // 0000000085C4: BEFE0124
	v_mov_b32_e32 v6, v57                                      // 0000000085C8: 7E0C0339
	s_mov_b64 s[60:61], 0                                      // 0000000085CC: BEBC0180
	v_readlane_b32 s82, v3, 6                                  // 0000000085D0: D2890052 00010D03
	s_and_b32 s82, s82, 0xffffff                               // 0000000085D8: 8652FF52 00FFFFFF
	s_cmp_lt_u32 s82, s66                                      // 0000000085E0: BF0A4252
	s_cselect_b32 s20, s36, s60                                // 0000000085E4: 85143C24
	v_readlane_b32 s82, v3, 7                                  // 0000000085E8: D2890052 00010F03
	s_and_b32 s82, s82, 0xffffff                               // 0000000085F0: 8652FF52 00FFFFFF
	s_cmp_lt_u32 s82, s66                                      // 0000000085F8: BF0A4252
	s_cselect_b32 s21, s36, s60                                // 0000000085FC: 85153C24
	s_mov_b64 exec, s[20:21]                                   // 000000008600: BEFE0114
	buffer_store_dword v71, v6, s[8:11], 0 offen               // 000000008604: E0701000 80024706
	s_mov_b64 exec, s[36:37]                                   // 00000000860C: BEFE0124
	v_mov_b32_e32 v6, v58                                      // 000000008610: 7E0C033A
	s_mov_b64 s[60:61], 0                                      // 000000008614: BEBC0180
	v_readlane_b32 s82, v3, 8                                  // 000000008618: D2890052 00011103
	s_and_b32 s82, s82, 0xffffff                               // 000000008620: 8652FF52 00FFFFFF
	s_cmp_lt_u32 s82, s66                                      // 000000008628: BF0A4252
	s_cselect_b32 s20, s36, s60                                // 00000000862C: 85143C24
	v_readlane_b32 s82, v3, 9                                  // 000000008630: D2890052 00011303
	s_and_b32 s82, s82, 0xffffff                               // 000000008638: 8652FF52 00FFFFFF
	s_cmp_lt_u32 s82, s66                                      // 000000008640: BF0A4252
	s_cselect_b32 s21, s36, s60                                // 000000008644: 85153C24
	s_mov_b64 exec, s[20:21]                                   // 000000008648: BEFE0114
	buffer_store_dword v72, v6, s[8:11], 0 offen               // 00000000864C: E0701000 80024806
	s_mov_b64 exec, s[36:37]                                   // 000000008654: BEFE0124
	v_mov_b32_e32 v6, v59                                      // 000000008658: 7E0C033B
	s_mov_b64 s[60:61], 0                                      // 00000000865C: BEBC0180
	v_readlane_b32 s82, v3, 10                                 // 000000008660: D2890052 00011503
	s_and_b32 s82, s82, 0xffffff                               // 000000008668: 8652FF52 00FFFFFF
	s_cmp_lt_u32 s82, s66                                      // 000000008670: BF0A4252
	s_cselect_b32 s20, s36, s60                                // 000000008674: 85143C24
	v_readlane_b32 s82, v3, 11                                 // 000000008678: D2890052 00011703
	s_and_b32 s82, s82, 0xffffff                               // 000000008680: 8652FF52 00FFFFFF
	s_cmp_lt_u32 s82, s66                                      // 000000008688: BF0A4252
	s_cselect_b32 s21, s36, s60                                // 00000000868C: 85153C24
	s_mov_b64 exec, s[20:21]                                   // 000000008690: BEFE0114
	buffer_store_dword v73, v6, s[8:11], 0 offen               // 000000008694: E0701000 80024906
	s_mov_b64 exec, s[36:37]                                   // 00000000869C: BEFE0124
	v_mov_b32_e32 v6, v60                                      // 0000000086A0: 7E0C033C
	s_mov_b64 s[60:61], 0                                      // 0000000086A4: BEBC0180
	v_readlane_b32 s82, v3, 12                                 // 0000000086A8: D2890052 00011903
	s_and_b32 s82, s82, 0xffffff                               // 0000000086B0: 8652FF52 00FFFFFF
	s_cmp_lt_u32 s82, s66                                      // 0000000086B8: BF0A4252
	s_cselect_b32 s20, s36, s60                                // 0000000086BC: 85143C24
	v_readlane_b32 s82, v3, 13                                 // 0000000086C0: D2890052 00011B03
	s_and_b32 s82, s82, 0xffffff                               // 0000000086C8: 8652FF52 00FFFFFF
	s_cmp_lt_u32 s82, s66                                      // 0000000086D0: BF0A4252
	s_cselect_b32 s21, s36, s60                                // 0000000086D4: 85153C24
	s_mov_b64 exec, s[20:21]                                   // 0000000086D8: BEFE0114
	buffer_store_dword v74, v6, s[8:11], 0 offen               // 0000000086DC: E0701000 80024A06
	s_mov_b64 exec, s[36:37]                                   // 0000000086E4: BEFE0124
	v_mov_b32_e32 v6, v61                                      // 0000000086E8: 7E0C033D
	s_mov_b64 s[60:61], 0                                      // 0000000086EC: BEBC0180
	v_readlane_b32 s82, v3, 14                                 // 0000000086F0: D2890052 00011D03
	s_and_b32 s82, s82, 0xffffff                               // 0000000086F8: 8652FF52 00FFFFFF
	s_cmp_lt_u32 s82, s66                                      // 000000008700: BF0A4252
	s_cselect_b32 s20, s36, s60                                // 000000008704: 85143C24
	v_readlane_b32 s82, v3, 15                                 // 000000008708: D2890052 00011F03
	s_and_b32 s82, s82, 0xffffff                               // 000000008710: 8652FF52 00FFFFFF
	s_cmp_lt_u32 s82, s66                                      // 000000008718: BF0A4252
	s_cselect_b32 s21, s36, s60                                // 00000000871C: 85153C24
	s_mov_b64 exec, s[20:21]                                   // 000000008720: BEFE0114
	buffer_store_dword v75, v6, s[8:11], 0 offen               // 000000008724: E0701000 80024B06
	s_mov_b64 exec, s[36:37]                                   // 00000000872C: BEFE0124
	v_mov_b32_e32 v6, v62                                      // 000000008730: 7E0C033E
	s_mov_b64 s[60:61], 0                                      // 000000008734: BEBC0180
	v_readlane_b32 s82, v3, 16                                 // 000000008738: D2890052 00012103
	s_and_b32 s82, s82, 0xffffff                               // 000000008740: 8652FF52 00FFFFFF
	s_cmp_lt_u32 s82, s66                                      // 000000008748: BF0A4252
	s_cselect_b32 s20, s36, s60                                // 00000000874C: 85143C24
	v_readlane_b32 s82, v3, 17                                 // 000000008750: D2890052 00012303
	s_and_b32 s82, s82, 0xffffff                               // 000000008758: 8652FF52 00FFFFFF
	s_cmp_lt_u32 s82, s66                                      // 000000008760: BF0A4252
	s_cselect_b32 s21, s36, s60                                // 000000008764: 85153C24
	s_mov_b64 exec, s[20:21]                                   // 000000008768: BEFE0114
	buffer_store_dword v76, v6, s[8:11], 0 offen               // 00000000876C: E0701000 80024C06
	s_mov_b64 exec, s[36:37]                                   // 000000008774: BEFE0124
	v_mov_b32_e32 v6, v63                                      // 000000008778: 7E0C033F
	s_mov_b64 s[60:61], 0                                      // 00000000877C: BEBC0180
	v_readlane_b32 s82, v3, 18                                 // 000000008780: D2890052 00012503
	s_and_b32 s82, s82, 0xffffff                               // 000000008788: 8652FF52 00FFFFFF
	s_cmp_lt_u32 s82, s66                                      // 000000008790: BF0A4252
	s_cselect_b32 s20, s36, s60                                // 000000008794: 85143C24
	v_readlane_b32 s82, v3, 19                                 // 000000008798: D2890052 00012703
	s_and_b32 s82, s82, 0xffffff                               // 0000000087A0: 8652FF52 00FFFFFF
	s_cmp_lt_u32 s82, s66                                      // 0000000087A8: BF0A4252
	s_cselect_b32 s21, s36, s60                                // 0000000087AC: 85153C24
	s_mov_b64 exec, s[20:21]                                   // 0000000087B0: BEFE0114
	buffer_store_dword v77, v6, s[8:11], 0 offen               // 0000000087B4: E0701000 80024D06
	s_mov_b64 exec, s[36:37]                                   // 0000000087BC: BEFE0124
	v_mov_b32_e32 v6, v64                                      // 0000000087C0: 7E0C0340
	s_mov_b64 s[60:61], 0                                      // 0000000087C4: BEBC0180
	v_readlane_b32 s82, v3, 20                                 // 0000000087C8: D2890052 00012903
	s_and_b32 s82, s82, 0xffffff                               // 0000000087D0: 8652FF52 00FFFFFF
	s_cmp_lt_u32 s82, s66                                      // 0000000087D8: BF0A4252
	s_cselect_b32 s20, s36, s60                                // 0000000087DC: 85143C24
	v_readlane_b32 s82, v3, 21                                 // 0000000087E0: D2890052 00012B03
	s_and_b32 s82, s82, 0xffffff                               // 0000000087E8: 8652FF52 00FFFFFF
	s_cmp_lt_u32 s82, s66                                      // 0000000087F0: BF0A4252
	s_cselect_b32 s21, s36, s60                                // 0000000087F4: 85153C24
	s_mov_b64 exec, s[20:21]                                   // 0000000087F8: BEFE0114
	buffer_store_dword v78, v6, s[8:11], 0 offen               // 0000000087FC: E0701000 80024E06
	s_mov_b64 exec, s[36:37]                                   // 000000008804: BEFE0124
	v_mov_b32_e32 v6, v65                                      // 000000008808: 7E0C0341
	s_mov_b64 s[60:61], 0                                      // 00000000880C: BEBC0180
	v_readlane_b32 s82, v3, 22                                 // 000000008810: D2890052 00012D03
	s_and_b32 s82, s82, 0xffffff                               // 000000008818: 8652FF52 00FFFFFF
	s_cmp_lt_u32 s82, s66                                      // 000000008820: BF0A4252
	s_cselect_b32 s20, s36, s60                                // 000000008824: 85143C24
	v_readlane_b32 s82, v3, 23                                 // 000000008828: D2890052 00012F03
	s_and_b32 s82, s82, 0xffffff                               // 000000008830: 8652FF52 00FFFFFF
	s_cmp_lt_u32 s82, s66                                      // 000000008838: BF0A4252
	s_cselect_b32 s21, s36, s60                                // 00000000883C: 85153C24
	s_mov_b64 exec, s[20:21]                                   // 000000008840: BEFE0114
	buffer_store_dword v79, v6, s[8:11], 0 offen               // 000000008844: E0701000 80024F06
	s_mov_b64 exec, s[36:37]                                   // 00000000884C: BEFE0124
	s_cmp_eq_u32 s7, 0                                         // 000000008850: BF068007
	s_cbranch_scc0 label_38D8                                  // 000000008854: BF84213F
	s_waitcnt vmcnt(12)                                        // 000000008858: BF8C0F7C
	s_mov_b32 s8, s90                                          // 00000000885C: BE88005A
	s_mov_b32 s9, s91                                          // 000000008860: BE89005B
	s_mul_i32 s60, s66, s71                                    // 000000008864: 923C4742
	s_add_u32 s8, s60, s8                                      // 000000008868: 8008083C
	s_addc_u32 s9, 0, s9                                       // 00000000886C: 82090980
	s_lshr_b32 s71, s71, 5                                     // 000000008870: 8F478547
	s_mul_i32 s60, s66, s71                                    // 000000008874: 923C4742
	s_mov_b32 s10, s60                                         // 000000008878: BE8A003C
	s_lshr_b32 s61, s65, 5                                     // 00000000887C: 8F3D8541
	s_mul_i32 s60, s2, 4                                       // 000000008880: 923C8402
	v_lshrrev_b32_e32 v4, 24, v30                              // 000000008884: 20083C98
	v_mul_lo_u32 v4, s61, v4                                   // 000000008888: D2850004 0002083D
	v_and_b32_e32 v30, 0xffffff, v30                           // 000000008890: 263C3CFF 00FFFFFF
	v_mul_lo_u32 v30, s71, v30                                 // 000000008898: D285001E 00023C47
	v_add_u32_e32 v30, v4, v30                                 // 0000000088A0: 683C3D04
	v_add_u32_e32 v30, s60, v30                                // 0000000088A4: 683C3C3C
	v_lshrrev_b32_e32 v4, 24, v31                              // 0000000088A8: 20083E98
	v_mul_lo_u32 v4, s61, v4                                   // 0000000088AC: D2850004 0002083D
	v_and_b32_e32 v31, 0xffffff, v31                           // 0000000088B4: 263E3EFF 00FFFFFF
	v_mul_lo_u32 v31, s71, v31                                 // 0000000088BC: D285001F 00023E47
	v_add_u32_e32 v31, v4, v31                                 // 0000000088C4: 683E3F04
	v_add_u32_e32 v31, s60, v31                                // 0000000088C8: 683E3E3C
	v_lshrrev_b32_e32 v4, 24, v32                              // 0000000088CC: 20084098
	v_mul_lo_u32 v4, s61, v4                                   // 0000000088D0: D2850004 0002083D
	v_and_b32_e32 v32, 0xffffff, v32                           // 0000000088D8: 264040FF 00FFFFFF
	v_mul_lo_u32 v32, s71, v32                                 // 0000000088E0: D2850020 00024047
	v_add_u32_e32 v32, v4, v32                                 // 0000000088E8: 68404104
	v_add_u32_e32 v32, s60, v32                                // 0000000088EC: 6840403C
	v_lshrrev_b32_e32 v4, 24, v33                              // 0000000088F0: 20084298
	v_mul_lo_u32 v4, s61, v4                                   // 0000000088F4: D2850004 0002083D
	v_and_b32_e32 v33, 0xffffff, v33                           // 0000000088FC: 264242FF 00FFFFFF
	v_mul_lo_u32 v33, s71, v33                                 // 000000008904: D2850021 00024247
	v_add_u32_e32 v33, v4, v33                                 // 00000000890C: 68424304
	v_add_u32_e32 v33, s60, v33                                // 000000008910: 6842423C
	v_lshrrev_b32_e32 v4, 24, v34                              // 000000008914: 20084498
	v_mul_lo_u32 v4, s61, v4                                   // 000000008918: D2850004 0002083D
	v_and_b32_e32 v34, 0xffffff, v34                           // 000000008920: 264444FF 00FFFFFF
	v_mul_lo_u32 v34, s71, v34                                 // 000000008928: D2850022 00024447
	v_add_u32_e32 v34, v4, v34                                 // 000000008930: 68444504
	v_add_u32_e32 v34, s60, v34                                // 000000008934: 6844443C
	v_lshrrev_b32_e32 v4, 24, v35                              // 000000008938: 20084698
	v_mul_lo_u32 v4, s61, v4                                   // 00000000893C: D2850004 0002083D
	v_and_b32_e32 v35, 0xffffff, v35                           // 000000008944: 264646FF 00FFFFFF
	v_mul_lo_u32 v35, s71, v35                                 // 00000000894C: D2850023 00024647
	v_add_u32_e32 v35, v4, v35                                 // 000000008954: 68464704
	v_add_u32_e32 v35, s60, v35                                // 000000008958: 6846463C
	s_mov_b64 exec, 0xffff                                     // 00000000895C: BEFE01FF 0000FFFF
	buffer_store_dword v116, v30, s[8:11], 0 offen             // 000000008964: E0701000 8002741E
	buffer_store_dword v117, v31, s[8:11], 0 offen             // 00000000896C: E0701000 8002751F
	buffer_store_dword v118, v32, s[8:11], 0 offen             // 000000008974: E0701000 80027620
	buffer_store_dword v119, v33, s[8:11], 0 offen             // 00000000897C: E0701000 80027721
	buffer_store_dword v120, v34, s[8:11], 0 offen             // 000000008984: E0701000 80027822
	buffer_store_dword v121, v35, s[8:11], 0 offen             // 00000000898C: E0701000 80027923
	s_mov_b64 exec, s[36:37]                                   // 000000008994: BEFE0124
	s_branch label_38D8                                        // 000000008998: BF8220EE

000000000000899c <label_17E7>:
	ds_write_b64 v20, v[68:69]                                 // 00000000899C: D89A0000 00004414
	ds_write_b64 v20, v[72:73] offset:4352                     // 0000000089A4: D89A1100 00004814
	ds_write_b64 v20, v[76:77] offset:8704                     // 0000000089AC: D89A2200 00004C14
	ds_write_b64 v20, v[80:81] offset:13056                    // 0000000089B4: D89A3300 00005014
	ds_write_b64 v20, v[84:85] offset:17408                    // 0000000089BC: D89A4400 00005414
	ds_write_b64 v20, v[88:89] offset:21760                    // 0000000089C4: D89A5500 00005814
	ds_write_b64 v20, v[92:93] offset:2176                     // 0000000089CC: D89A0880 00005C14
	ds_write_b64 v20, v[96:97] offset:6528                     // 0000000089D4: D89A1980 00006014
	ds_write_b64 v20, v[100:101] offset:10880                  // 0000000089DC: D89A2A80 00006414
	ds_write_b64 v20, v[104:105] offset:15232                  // 0000000089E4: D89A3B80 00006814
	ds_write_b64 v20, v[108:109] offset:19584                  // 0000000089EC: D89A4C80 00006C14
	ds_write_b64 v20, v[112:113] offset:23936                  // 0000000089F4: D89A5D80 00007014
	v_lshrrev_b32_e32 v4, 5, v0                                // 0000000089FC: 20080085
	v_xor_b32_e32 v5, 1, v4                                    // 000000008A00: 2A0A0881
	s_mul_i32 s60, s65, 1                                      // 000000008A04: 923C8141
	s_cmp_eq_u32 s88, 0                                        // 000000008A08: BF068058
	s_cselect_b32 s61, 1, 8                                    // 000000008A0C: 853D8881
	s_mul_i32 s60, s61, s60                                    // 000000008A10: 923C3C3D
	v_readlane_b32 s82, v3, 0                                  // 000000008A14: D2890052 00010103
	s_lshr_b32 s61, s82, 24                                    // 000000008A1C: 8F3D9852
	s_and_b32 s82, s82, 0xffffff                               // 000000008A20: 8652FF52 00FFFFFF
	s_mul_i32 s82, s82, s71                                    // 000000008A28: 92524752
	s_mul_i32 s61, s60, s61                                    // 000000008A2C: 923D3D3C
	s_add_u32 s82, s82, s61                                    // 000000008A30: 80523D52
	v_mul_lo_u32 v6, v5, s82                                   // 000000008A34: D2850006 0000A505
	v_readlane_b32 s82, v3, 1                                  // 000000008A3C: D2890052 00010303
	s_lshr_b32 s61, s82, 24                                    // 000000008A44: 8F3D9852
	s_and_b32 s82, s82, 0xffffff                               // 000000008A48: 8652FF52 00FFFFFF
	s_mul_i32 s82, s82, s71                                    // 000000008A50: 92524752
	s_mul_i32 s61, s60, s61                                    // 000000008A54: 923D3D3C
	s_add_u32 s82, s82, s61                                    // 000000008A58: 80523D52
	v_mul_lo_u32 v7, v4, s82                                   // 000000008A5C: D2850007 0000A504
	v_add_u32_e32 v54, v6, v7                                  // 000000008A64: 686C0F06
	v_readlane_b32 s82, v3, 2                                  // 000000008A68: D2890052 00010503
	s_lshr_b32 s61, s82, 24                                    // 000000008A70: 8F3D9852
	s_and_b32 s82, s82, 0xffffff                               // 000000008A74: 8652FF52 00FFFFFF
	s_mul_i32 s82, s82, s71                                    // 000000008A7C: 92524752
	s_mul_i32 s61, s60, s61                                    // 000000008A80: 923D3D3C
	s_add_u32 s82, s82, s61                                    // 000000008A84: 80523D52
	v_mul_lo_u32 v6, v5, s82                                   // 000000008A88: D2850006 0000A505
	v_readlane_b32 s82, v3, 3                                  // 000000008A90: D2890052 00010703
	s_lshr_b32 s61, s82, 24                                    // 000000008A98: 8F3D9852
	s_and_b32 s82, s82, 0xffffff                               // 000000008A9C: 8652FF52 00FFFFFF
	s_mul_i32 s82, s82, s71                                    // 000000008AA4: 92524752
	s_mul_i32 s61, s60, s61                                    // 000000008AA8: 923D3D3C
	s_add_u32 s82, s82, s61                                    // 000000008AAC: 80523D52
	v_mul_lo_u32 v7, v4, s82                                   // 000000008AB0: D2850007 0000A504
	v_add_u32_e32 v55, v6, v7                                  // 000000008AB8: 686E0F06
	v_readlane_b32 s82, v3, 4                                  // 000000008ABC: D2890052 00010903
	s_lshr_b32 s61, s82, 24                                    // 000000008AC4: 8F3D9852
	s_and_b32 s82, s82, 0xffffff                               // 000000008AC8: 8652FF52 00FFFFFF
	s_mul_i32 s82, s82, s71                                    // 000000008AD0: 92524752
	s_mul_i32 s61, s60, s61                                    // 000000008AD4: 923D3D3C
	s_add_u32 s82, s82, s61                                    // 000000008AD8: 80523D52
	v_mul_lo_u32 v6, v5, s82                                   // 000000008ADC: D2850006 0000A505
	v_readlane_b32 s82, v3, 5                                  // 000000008AE4: D2890052 00010B03
	s_lshr_b32 s61, s82, 24                                    // 000000008AEC: 8F3D9852
	s_and_b32 s82, s82, 0xffffff                               // 000000008AF0: 8652FF52 00FFFFFF
	s_mul_i32 s82, s82, s71                                    // 000000008AF8: 92524752
	s_mul_i32 s61, s60, s61                                    // 000000008AFC: 923D3D3C
	s_add_u32 s82, s82, s61                                    // 000000008B00: 80523D52
	v_mul_lo_u32 v7, v4, s82                                   // 000000008B04: D2850007 0000A504
	v_add_u32_e32 v56, v6, v7                                  // 000000008B0C: 68700F06
	v_readlane_b32 s82, v3, 6                                  // 000000008B10: D2890052 00010D03
	s_lshr_b32 s61, s82, 24                                    // 000000008B18: 8F3D9852
	s_and_b32 s82, s82, 0xffffff                               // 000000008B1C: 8652FF52 00FFFFFF
	s_mul_i32 s82, s82, s71                                    // 000000008B24: 92524752
	s_mul_i32 s61, s60, s61                                    // 000000008B28: 923D3D3C
	s_add_u32 s82, s82, s61                                    // 000000008B2C: 80523D52
	v_mul_lo_u32 v6, v5, s82                                   // 000000008B30: D2850006 0000A505
	v_readlane_b32 s82, v3, 7                                  // 000000008B38: D2890052 00010F03
	s_lshr_b32 s61, s82, 24                                    // 000000008B40: 8F3D9852
	s_and_b32 s82, s82, 0xffffff                               // 000000008B44: 8652FF52 00FFFFFF
	s_mul_i32 s82, s82, s71                                    // 000000008B4C: 92524752
	s_mul_i32 s61, s60, s61                                    // 000000008B50: 923D3D3C
	s_add_u32 s82, s82, s61                                    // 000000008B54: 80523D52
	v_mul_lo_u32 v7, v4, s82                                   // 000000008B58: D2850007 0000A504
	v_add_u32_e32 v57, v6, v7                                  // 000000008B60: 68720F06
	v_readlane_b32 s82, v3, 8                                  // 000000008B64: D2890052 00011103
	s_lshr_b32 s61, s82, 24                                    // 000000008B6C: 8F3D9852
	s_and_b32 s82, s82, 0xffffff                               // 000000008B70: 8652FF52 00FFFFFF
	s_mul_i32 s82, s82, s71                                    // 000000008B78: 92524752
	s_mul_i32 s61, s60, s61                                    // 000000008B7C: 923D3D3C
	s_add_u32 s82, s82, s61                                    // 000000008B80: 80523D52
	v_mul_lo_u32 v6, v5, s82                                   // 000000008B84: D2850006 0000A505
	v_readlane_b32 s82, v3, 9                                  // 000000008B8C: D2890052 00011303
	s_lshr_b32 s61, s82, 24                                    // 000000008B94: 8F3D9852
	s_and_b32 s82, s82, 0xffffff                               // 000000008B98: 8652FF52 00FFFFFF
	s_mul_i32 s82, s82, s71                                    // 000000008BA0: 92524752
	s_mul_i32 s61, s60, s61                                    // 000000008BA4: 923D3D3C
	s_add_u32 s82, s82, s61                                    // 000000008BA8: 80523D52
	v_mul_lo_u32 v7, v4, s82                                   // 000000008BAC: D2850007 0000A504
	v_add_u32_e32 v58, v6, v7                                  // 000000008BB4: 68740F06
	v_readlane_b32 s82, v3, 10                                 // 000000008BB8: D2890052 00011503
	s_lshr_b32 s61, s82, 24                                    // 000000008BC0: 8F3D9852
	s_and_b32 s82, s82, 0xffffff                               // 000000008BC4: 8652FF52 00FFFFFF
	s_mul_i32 s82, s82, s71                                    // 000000008BCC: 92524752
	s_mul_i32 s61, s60, s61                                    // 000000008BD0: 923D3D3C
	s_add_u32 s82, s82, s61                                    // 000000008BD4: 80523D52
	v_mul_lo_u32 v6, v5, s82                                   // 000000008BD8: D2850006 0000A505
	v_readlane_b32 s82, v3, 11                                 // 000000008BE0: D2890052 00011703
	s_lshr_b32 s61, s82, 24                                    // 000000008BE8: 8F3D9852
	s_and_b32 s82, s82, 0xffffff                               // 000000008BEC: 8652FF52 00FFFFFF
	s_mul_i32 s82, s82, s71                                    // 000000008BF4: 92524752
	s_mul_i32 s61, s60, s61                                    // 000000008BF8: 923D3D3C
	s_add_u32 s82, s82, s61                                    // 000000008BFC: 80523D52
	v_mul_lo_u32 v7, v4, s82                                   // 000000008C00: D2850007 0000A504
	v_add_u32_e32 v59, v6, v7                                  // 000000008C08: 68760F06
	v_readlane_b32 s82, v3, 12                                 // 000000008C0C: D2890052 00011903
	s_lshr_b32 s61, s82, 24                                    // 000000008C14: 8F3D9852
	s_and_b32 s82, s82, 0xffffff                               // 000000008C18: 8652FF52 00FFFFFF
	s_mul_i32 s82, s82, s71                                    // 000000008C20: 92524752
	s_mul_i32 s61, s60, s61                                    // 000000008C24: 923D3D3C
	s_add_u32 s82, s82, s61                                    // 000000008C28: 80523D52
	v_mul_lo_u32 v6, v5, s82                                   // 000000008C2C: D2850006 0000A505
	v_readlane_b32 s82, v3, 13                                 // 000000008C34: D2890052 00011B03
	s_lshr_b32 s61, s82, 24                                    // 000000008C3C: 8F3D9852
	s_and_b32 s82, s82, 0xffffff                               // 000000008C40: 8652FF52 00FFFFFF
	s_mul_i32 s82, s82, s71                                    // 000000008C48: 92524752
	s_mul_i32 s61, s60, s61                                    // 000000008C4C: 923D3D3C
	s_add_u32 s82, s82, s61                                    // 000000008C50: 80523D52
	v_mul_lo_u32 v7, v4, s82                                   // 000000008C54: D2850007 0000A504
	v_add_u32_e32 v60, v6, v7                                  // 000000008C5C: 68780F06
	v_readlane_b32 s82, v3, 14                                 // 000000008C60: D2890052 00011D03
	s_lshr_b32 s61, s82, 24                                    // 000000008C68: 8F3D9852
	s_and_b32 s82, s82, 0xffffff                               // 000000008C6C: 8652FF52 00FFFFFF
	s_mul_i32 s82, s82, s71                                    // 000000008C74: 92524752
	s_mul_i32 s61, s60, s61                                    // 000000008C78: 923D3D3C
	s_add_u32 s82, s82, s61                                    // 000000008C7C: 80523D52
	v_mul_lo_u32 v6, v5, s82                                   // 000000008C80: D2850006 0000A505
	v_readlane_b32 s82, v3, 15                                 // 000000008C88: D2890052 00011F03
	s_lshr_b32 s61, s82, 24                                    // 000000008C90: 8F3D9852
	s_and_b32 s82, s82, 0xffffff                               // 000000008C94: 8652FF52 00FFFFFF
	s_mul_i32 s82, s82, s71                                    // 000000008C9C: 92524752
	s_mul_i32 s61, s60, s61                                    // 000000008CA0: 923D3D3C
	s_add_u32 s82, s82, s61                                    // 000000008CA4: 80523D52
	v_mul_lo_u32 v7, v4, s82                                   // 000000008CA8: D2850007 0000A504
	v_add_u32_e32 v61, v6, v7                                  // 000000008CB0: 687A0F06
	v_readlane_b32 s82, v3, 16                                 // 000000008CB4: D2890052 00012103
	s_lshr_b32 s61, s82, 24                                    // 000000008CBC: 8F3D9852
	s_and_b32 s82, s82, 0xffffff                               // 000000008CC0: 8652FF52 00FFFFFF
	s_mul_i32 s82, s82, s71                                    // 000000008CC8: 92524752
	s_mul_i32 s61, s60, s61                                    // 000000008CCC: 923D3D3C
	s_add_u32 s82, s82, s61                                    // 000000008CD0: 80523D52
	v_mul_lo_u32 v6, v5, s82                                   // 000000008CD4: D2850006 0000A505
	v_readlane_b32 s82, v3, 17                                 // 000000008CDC: D2890052 00012303
	s_lshr_b32 s61, s82, 24                                    // 000000008CE4: 8F3D9852
	s_and_b32 s82, s82, 0xffffff                               // 000000008CE8: 8652FF52 00FFFFFF
	s_mul_i32 s82, s82, s71                                    // 000000008CF0: 92524752
	s_mul_i32 s61, s60, s61                                    // 000000008CF4: 923D3D3C
	s_add_u32 s82, s82, s61                                    // 000000008CF8: 80523D52
	v_mul_lo_u32 v7, v4, s82                                   // 000000008CFC: D2850007 0000A504
	v_add_u32_e32 v62, v6, v7                                  // 000000008D04: 687C0F06
	v_readlane_b32 s82, v3, 18                                 // 000000008D08: D2890052 00012503
	s_lshr_b32 s61, s82, 24                                    // 000000008D10: 8F3D9852
	s_and_b32 s82, s82, 0xffffff                               // 000000008D14: 8652FF52 00FFFFFF
	s_mul_i32 s82, s82, s71                                    // 000000008D1C: 92524752
	s_mul_i32 s61, s60, s61                                    // 000000008D20: 923D3D3C
	s_add_u32 s82, s82, s61                                    // 000000008D24: 80523D52
	v_mul_lo_u32 v6, v5, s82                                   // 000000008D28: D2850006 0000A505
	v_readlane_b32 s82, v3, 19                                 // 000000008D30: D2890052 00012703
	s_lshr_b32 s61, s82, 24                                    // 000000008D38: 8F3D9852
	s_and_b32 s82, s82, 0xffffff                               // 000000008D3C: 8652FF52 00FFFFFF
	s_mul_i32 s82, s82, s71                                    // 000000008D44: 92524752
	s_mul_i32 s61, s60, s61                                    // 000000008D48: 923D3D3C
	s_add_u32 s82, s82, s61                                    // 000000008D4C: 80523D52
	v_mul_lo_u32 v7, v4, s82                                   // 000000008D50: D2850007 0000A504
	v_add_u32_e32 v63, v6, v7                                  // 000000008D58: 687E0F06
	v_readlane_b32 s82, v3, 20                                 // 000000008D5C: D2890052 00012903
	s_lshr_b32 s61, s82, 24                                    // 000000008D64: 8F3D9852
	s_and_b32 s82, s82, 0xffffff                               // 000000008D68: 8652FF52 00FFFFFF
	s_mul_i32 s82, s82, s71                                    // 000000008D70: 92524752
	s_mul_i32 s61, s60, s61                                    // 000000008D74: 923D3D3C
	s_add_u32 s82, s82, s61                                    // 000000008D78: 80523D52
	v_mul_lo_u32 v6, v5, s82                                   // 000000008D7C: D2850006 0000A505
	v_readlane_b32 s82, v3, 21                                 // 000000008D84: D2890052 00012B03
	s_lshr_b32 s61, s82, 24                                    // 000000008D8C: 8F3D9852
	s_and_b32 s82, s82, 0xffffff                               // 000000008D90: 8652FF52 00FFFFFF
	s_mul_i32 s82, s82, s71                                    // 000000008D98: 92524752
	s_mul_i32 s61, s60, s61                                    // 000000008D9C: 923D3D3C
	s_add_u32 s82, s82, s61                                    // 000000008DA0: 80523D52
	v_mul_lo_u32 v7, v4, s82                                   // 000000008DA4: D2850007 0000A504
	v_add_u32_e32 v64, v6, v7                                  // 000000008DAC: 68800F06
	v_readlane_b32 s82, v3, 22                                 // 000000008DB0: D2890052 00012D03
	s_lshr_b32 s61, s82, 24                                    // 000000008DB8: 8F3D9852
	s_and_b32 s82, s82, 0xffffff                               // 000000008DBC: 8652FF52 00FFFFFF
	s_mul_i32 s82, s82, s71                                    // 000000008DC4: 92524752
	s_mul_i32 s61, s60, s61                                    // 000000008DC8: 923D3D3C
	s_add_u32 s82, s82, s61                                    // 000000008DCC: 80523D52
	v_mul_lo_u32 v6, v5, s82                                   // 000000008DD0: D2850006 0000A505
	v_readlane_b32 s82, v3, 23                                 // 000000008DD8: D2890052 00012F03
	s_lshr_b32 s61, s82, 24                                    // 000000008DE0: 8F3D9852
	s_and_b32 s82, s82, 0xffffff                               // 000000008DE4: 8652FF52 00FFFFFF
	s_mul_i32 s82, s82, s71                                    // 000000008DEC: 92524752
	s_mul_i32 s61, s60, s61                                    // 000000008DF0: 923D3D3C
	s_add_u32 s82, s82, s61                                    // 000000008DF4: 80523D52
	v_mul_lo_u32 v7, v4, s82                                   // 000000008DF8: D2850007 0000A504
	v_add_u32_e32 v65, v6, v7                                  // 000000008E00: 68820F06
	v_and_b32_e32 v4, 31, v0                                   // 000000008E04: 2608009F
	v_lshrrev_b32_e32 v4, 1, v4                                // 000000008E08: 20080881
	s_cmp_eq_u32 s88, 0                                        // 000000008E0C: BF068058
	s_cselect_b32 s61, 2, 4                                    // 000000008E10: 853D8482
	v_mul_lo_u32 v4, v4, s61                                   // 000000008E14: D2850004 00007B04
	v_and_b32_e64 v5, v0, 1                                    // 000000008E1C: D1130005 00010300
	v_add_u32_e32 v4, v4, v5                                   // 000000008E24: 68080B04
	v_lshlrev_b32_e32 v4, 2, v4                                // 000000008E28: 24080882
	v_add_u32_e32 v54, v54, v4                                 // 000000008E2C: 686C0936
	v_add_u32_e32 v55, v55, v4                                 // 000000008E30: 686E0937
	v_add_u32_e32 v56, v56, v4                                 // 000000008E34: 68700938
	v_add_u32_e32 v57, v57, v4                                 // 000000008E38: 68720939
	v_add_u32_e32 v58, v58, v4                                 // 000000008E3C: 6874093A
	v_add_u32_e32 v59, v59, v4                                 // 000000008E40: 6876093B
	v_add_u32_e32 v60, v60, v4                                 // 000000008E44: 6878093C
	v_add_u32_e32 v61, v61, v4                                 // 000000008E48: 687A093D
	v_add_u32_e32 v62, v62, v4                                 // 000000008E4C: 687C093E
	v_add_u32_e32 v63, v63, v4                                 // 000000008E50: 687E093F
	v_add_u32_e32 v64, v64, v4                                 // 000000008E54: 68800940
	v_add_u32_e32 v65, v65, v4                                 // 000000008E58: 68820941
	s_waitcnt lgkmcnt(0)                                       // 000000008E5C: BF8CC07F
	s_barrier                                                  // 000000008E60: BF8A0000
	ds_read_b32 v68, v21                                       // 000000008E64: D86C0000 44000015
	ds_read_b32 v69, v21 offset:64                             // 000000008E6C: D86C0040 45000015
	ds_read_b32 v72, v21 offset:2176                           // 000000008E74: D86C0880 48000015
	ds_read_b32 v73, v21 offset:2240                           // 000000008E7C: D86C08C0 49000015
	ds_read_b32 v76, v21 offset:4352                           // 000000008E84: D86C1100 4C000015
	ds_read_b32 v77, v21 offset:4416                           // 000000008E8C: D86C1140 4D000015
	ds_read_b32 v80, v21 offset:6528                           // 000000008E94: D86C1980 50000015
	ds_read_b32 v81, v21 offset:6592                           // 000000008E9C: D86C19C0 51000015
	ds_read_b32 v84, v21 offset:8704                           // 000000008EA4: D86C2200 54000015
	ds_read_b32 v85, v21 offset:8768                           // 000000008EAC: D86C2240 55000015
	ds_read_b32 v88, v21 offset:10880                          // 000000008EB4: D86C2A80 58000015
	ds_read_b32 v89, v21 offset:10944                          // 000000008EBC: D86C2AC0 59000015
	ds_read_b32 v92, v21 offset:13056                          // 000000008EC4: D86C3300 5C000015
	ds_read_b32 v93, v21 offset:13120                          // 000000008ECC: D86C3340 5D000015
	ds_read_b32 v96, v21 offset:15232                          // 000000008ED4: D86C3B80 60000015
	ds_read_b32 v97, v21 offset:15296                          // 000000008EDC: D86C3BC0 61000015
	ds_read_b32 v100, v21 offset:17408                         // 000000008EE4: D86C4400 64000015
	ds_read_b32 v101, v21 offset:17472                         // 000000008EEC: D86C4440 65000015
	ds_read_b32 v104, v21 offset:19584                         // 000000008EF4: D86C4C80 68000015
	ds_read_b32 v105, v21 offset:19648                         // 000000008EFC: D86C4CC0 69000015
	ds_read_b32 v108, v21 offset:21760                         // 000000008F04: D86C5500 6C000015
	ds_read_b32 v109, v21 offset:21824                         // 000000008F0C: D86C5540 6D000015
	ds_read_b32 v112, v21 offset:23936                         // 000000008F14: D86C5D80 70000015
	ds_read_b32 v113, v21 offset:24000                         // 000000008F1C: D86C5DC0 71000015
	s_waitcnt lgkmcnt(0)                                       // 000000008F24: BF8CC07F
	s_mov_b32 s36, -1                                          // 000000008F28: BEA400C1
	s_mov_b32 s37, -1                                          // 000000008F2C: BEA500C1
	v_mov_b32_e32 v7, 0                                        // 000000008F30: 7E0E0280
	s_mov_b64 exec, s[36:37]                                   // 000000008F34: BEFE0124
	v_mov_b32_e32 v6, v54                                      // 000000008F38: 7E0C0336
	s_mov_b64 s[60:61], 0                                      // 000000008F3C: BEBC0180
	v_readlane_b32 s82, v3, 0                                  // 000000008F40: D2890052 00010103
	s_and_b32 s82, s82, 0xffffff                               // 000000008F48: 8652FF52 00FFFFFF
	s_cmp_lt_u32 s82, s66                                      // 000000008F50: BF0A4252
	s_cselect_b32 s20, s36, s60                                // 000000008F54: 85143C24
	v_readlane_b32 s82, v3, 1                                  // 000000008F58: D2890052 00010303
	s_and_b32 s82, s82, 0xffffff                               // 000000008F60: 8652FF52 00FFFFFF
	s_cmp_lt_u32 s82, s66                                      // 000000008F68: BF0A4252
	s_cselect_b32 s21, s36, s60                                // 000000008F6C: 85153C24
	s_mov_b64 exec, s[20:21]                                   // 000000008F70: BEFE0114
	global_atomic_add_f32 v6, v68, s[8:9]                      // 000000008F74: DD348000 00084406
	global_atomic_add_f32 v6, v72, s[8:9] offset:256           // 000000008F7C: DD348100 00084806
	s_mov_b64 exec, s[36:37]                                   // 000000008F84: BEFE0124
	v_mov_b32_e32 v6, v55                                      // 000000008F88: 7E0C0337
	s_mov_b64 s[60:61], 0                                      // 000000008F8C: BEBC0180
	v_readlane_b32 s82, v3, 2                                  // 000000008F90: D2890052 00010503
	s_and_b32 s82, s82, 0xffffff                               // 000000008F98: 8652FF52 00FFFFFF
	s_cmp_lt_u32 s82, s66                                      // 000000008FA0: BF0A4252
	s_cselect_b32 s20, s36, s60                                // 000000008FA4: 85143C24
	v_readlane_b32 s82, v3, 3                                  // 000000008FA8: D2890052 00010703
	s_and_b32 s82, s82, 0xffffff                               // 000000008FB0: 8652FF52 00FFFFFF
	s_cmp_lt_u32 s82, s66                                      // 000000008FB8: BF0A4252
	s_cselect_b32 s21, s36, s60                                // 000000008FBC: 85153C24
	s_mov_b64 exec, s[20:21]                                   // 000000008FC0: BEFE0114
	global_atomic_add_f32 v6, v69, s[8:9]                      // 000000008FC4: DD348000 00084506
	global_atomic_add_f32 v6, v73, s[8:9] offset:256           // 000000008FCC: DD348100 00084906
	s_mov_b64 exec, s[36:37]                                   // 000000008FD4: BEFE0124
	v_mov_b32_e32 v6, v56                                      // 000000008FD8: 7E0C0338
	s_mov_b64 s[60:61], 0                                      // 000000008FDC: BEBC0180
	v_readlane_b32 s82, v3, 4                                  // 000000008FE0: D2890052 00010903
	s_and_b32 s82, s82, 0xffffff                               // 000000008FE8: 8652FF52 00FFFFFF
	s_cmp_lt_u32 s82, s66                                      // 000000008FF0: BF0A4252
	s_cselect_b32 s20, s36, s60                                // 000000008FF4: 85143C24
	v_readlane_b32 s82, v3, 5                                  // 000000008FF8: D2890052 00010B03
	s_and_b32 s82, s82, 0xffffff                               // 000000009000: 8652FF52 00FFFFFF
	s_cmp_lt_u32 s82, s66                                      // 000000009008: BF0A4252
	s_cselect_b32 s21, s36, s60                                // 00000000900C: 85153C24
	s_mov_b64 exec, s[20:21]                                   // 000000009010: BEFE0114
	global_atomic_add_f32 v6, v76, s[8:9]                      // 000000009014: DD348000 00084C06
	global_atomic_add_f32 v6, v80, s[8:9] offset:256           // 00000000901C: DD348100 00085006
	s_mov_b64 exec, s[36:37]                                   // 000000009024: BEFE0124
	v_mov_b32_e32 v6, v57                                      // 000000009028: 7E0C0339
	s_mov_b64 s[60:61], 0                                      // 00000000902C: BEBC0180
	v_readlane_b32 s82, v3, 6                                  // 000000009030: D2890052 00010D03
	s_and_b32 s82, s82, 0xffffff                               // 000000009038: 8652FF52 00FFFFFF
	s_cmp_lt_u32 s82, s66                                      // 000000009040: BF0A4252
	s_cselect_b32 s20, s36, s60                                // 000000009044: 85143C24
	v_readlane_b32 s82, v3, 7                                  // 000000009048: D2890052 00010F03
	s_and_b32 s82, s82, 0xffffff                               // 000000009050: 8652FF52 00FFFFFF
	s_cmp_lt_u32 s82, s66                                      // 000000009058: BF0A4252
	s_cselect_b32 s21, s36, s60                                // 00000000905C: 85153C24
	s_mov_b64 exec, s[20:21]                                   // 000000009060: BEFE0114
	global_atomic_add_f32 v6, v77, s[8:9]                      // 000000009064: DD348000 00084D06
	global_atomic_add_f32 v6, v81, s[8:9] offset:256           // 00000000906C: DD348100 00085106
	s_mov_b64 exec, s[36:37]                                   // 000000009074: BEFE0124
	v_mov_b32_e32 v6, v58                                      // 000000009078: 7E0C033A
	s_mov_b64 s[60:61], 0                                      // 00000000907C: BEBC0180
	v_readlane_b32 s82, v3, 8                                  // 000000009080: D2890052 00011103
	s_and_b32 s82, s82, 0xffffff                               // 000000009088: 8652FF52 00FFFFFF
	s_cmp_lt_u32 s82, s66                                      // 000000009090: BF0A4252
	s_cselect_b32 s20, s36, s60                                // 000000009094: 85143C24
	v_readlane_b32 s82, v3, 9                                  // 000000009098: D2890052 00011303
	s_and_b32 s82, s82, 0xffffff                               // 0000000090A0: 8652FF52 00FFFFFF
	s_cmp_lt_u32 s82, s66                                      // 0000000090A8: BF0A4252
	s_cselect_b32 s21, s36, s60                                // 0000000090AC: 85153C24
	s_mov_b64 exec, s[20:21]                                   // 0000000090B0: BEFE0114
	global_atomic_add_f32 v6, v84, s[8:9]                      // 0000000090B4: DD348000 00085406
	global_atomic_add_f32 v6, v88, s[8:9] offset:256           // 0000000090BC: DD348100 00085806
	s_mov_b64 exec, s[36:37]                                   // 0000000090C4: BEFE0124
	v_mov_b32_e32 v6, v59                                      // 0000000090C8: 7E0C033B
	s_mov_b64 s[60:61], 0                                      // 0000000090CC: BEBC0180
	v_readlane_b32 s82, v3, 10                                 // 0000000090D0: D2890052 00011503
	s_and_b32 s82, s82, 0xffffff                               // 0000000090D8: 8652FF52 00FFFFFF
	s_cmp_lt_u32 s82, s66                                      // 0000000090E0: BF0A4252
	s_cselect_b32 s20, s36, s60                                // 0000000090E4: 85143C24
	v_readlane_b32 s82, v3, 11                                 // 0000000090E8: D2890052 00011703
	s_and_b32 s82, s82, 0xffffff                               // 0000000090F0: 8652FF52 00FFFFFF
	s_cmp_lt_u32 s82, s66                                      // 0000000090F8: BF0A4252
	s_cselect_b32 s21, s36, s60                                // 0000000090FC: 85153C24
	s_mov_b64 exec, s[20:21]                                   // 000000009100: BEFE0114
	global_atomic_add_f32 v6, v85, s[8:9]                      // 000000009104: DD348000 00085506
	global_atomic_add_f32 v6, v89, s[8:9] offset:256           // 00000000910C: DD348100 00085906
	s_mov_b64 exec, s[36:37]                                   // 000000009114: BEFE0124
	v_mov_b32_e32 v6, v60                                      // 000000009118: 7E0C033C
	s_mov_b64 s[60:61], 0                                      // 00000000911C: BEBC0180
	v_readlane_b32 s82, v3, 12                                 // 000000009120: D2890052 00011903
	s_and_b32 s82, s82, 0xffffff                               // 000000009128: 8652FF52 00FFFFFF
	s_cmp_lt_u32 s82, s66                                      // 000000009130: BF0A4252
	s_cselect_b32 s20, s36, s60                                // 000000009134: 85143C24
	v_readlane_b32 s82, v3, 13                                 // 000000009138: D2890052 00011B03
	s_and_b32 s82, s82, 0xffffff                               // 000000009140: 8652FF52 00FFFFFF
	s_cmp_lt_u32 s82, s66                                      // 000000009148: BF0A4252
	s_cselect_b32 s21, s36, s60                                // 00000000914C: 85153C24
	s_mov_b64 exec, s[20:21]                                   // 000000009150: BEFE0114
	global_atomic_add_f32 v6, v92, s[8:9]                      // 000000009154: DD348000 00085C06
	global_atomic_add_f32 v6, v96, s[8:9] offset:256           // 00000000915C: DD348100 00086006
	s_mov_b64 exec, s[36:37]                                   // 000000009164: BEFE0124
	v_mov_b32_e32 v6, v61                                      // 000000009168: 7E0C033D
	s_mov_b64 s[60:61], 0                                      // 00000000916C: BEBC0180
	v_readlane_b32 s82, v3, 14                                 // 000000009170: D2890052 00011D03
	s_and_b32 s82, s82, 0xffffff                               // 000000009178: 8652FF52 00FFFFFF
	s_cmp_lt_u32 s82, s66                                      // 000000009180: BF0A4252
	s_cselect_b32 s20, s36, s60                                // 000000009184: 85143C24
	v_readlane_b32 s82, v3, 15                                 // 000000009188: D2890052 00011F03
	s_and_b32 s82, s82, 0xffffff                               // 000000009190: 8652FF52 00FFFFFF
	s_cmp_lt_u32 s82, s66                                      // 000000009198: BF0A4252
	s_cselect_b32 s21, s36, s60                                // 00000000919C: 85153C24
	s_mov_b64 exec, s[20:21]                                   // 0000000091A0: BEFE0114
	global_atomic_add_f32 v6, v93, s[8:9]                      // 0000000091A4: DD348000 00085D06
	global_atomic_add_f32 v6, v97, s[8:9] offset:256           // 0000000091AC: DD348100 00086106
	s_mov_b64 exec, s[36:37]                                   // 0000000091B4: BEFE0124
	v_mov_b32_e32 v6, v62                                      // 0000000091B8: 7E0C033E
	s_mov_b64 s[60:61], 0                                      // 0000000091BC: BEBC0180
	v_readlane_b32 s82, v3, 16                                 // 0000000091C0: D2890052 00012103
	s_and_b32 s82, s82, 0xffffff                               // 0000000091C8: 8652FF52 00FFFFFF
	s_cmp_lt_u32 s82, s66                                      // 0000000091D0: BF0A4252
	s_cselect_b32 s20, s36, s60                                // 0000000091D4: 85143C24
	v_readlane_b32 s82, v3, 17                                 // 0000000091D8: D2890052 00012303
	s_and_b32 s82, s82, 0xffffff                               // 0000000091E0: 8652FF52 00FFFFFF
	s_cmp_lt_u32 s82, s66                                      // 0000000091E8: BF0A4252
	s_cselect_b32 s21, s36, s60                                // 0000000091EC: 85153C24
	s_mov_b64 exec, s[20:21]                                   // 0000000091F0: BEFE0114
	global_atomic_add_f32 v6, v100, s[8:9]                     // 0000000091F4: DD348000 00086406
	global_atomic_add_f32 v6, v104, s[8:9] offset:256          // 0000000091FC: DD348100 00086806
	s_mov_b64 exec, s[36:37]                                   // 000000009204: BEFE0124
	v_mov_b32_e32 v6, v63                                      // 000000009208: 7E0C033F
	s_mov_b64 s[60:61], 0                                      // 00000000920C: BEBC0180
	v_readlane_b32 s82, v3, 18                                 // 000000009210: D2890052 00012503
	s_and_b32 s82, s82, 0xffffff                               // 000000009218: 8652FF52 00FFFFFF
	s_cmp_lt_u32 s82, s66                                      // 000000009220: BF0A4252
	s_cselect_b32 s20, s36, s60                                // 000000009224: 85143C24
	v_readlane_b32 s82, v3, 19                                 // 000000009228: D2890052 00012703
	s_and_b32 s82, s82, 0xffffff                               // 000000009230: 8652FF52 00FFFFFF
	s_cmp_lt_u32 s82, s66                                      // 000000009238: BF0A4252
	s_cselect_b32 s21, s36, s60                                // 00000000923C: 85153C24
	s_mov_b64 exec, s[20:21]                                   // 000000009240: BEFE0114
	global_atomic_add_f32 v6, v101, s[8:9]                     // 000000009244: DD348000 00086506
	global_atomic_add_f32 v6, v105, s[8:9] offset:256          // 00000000924C: DD348100 00086906
	s_mov_b64 exec, s[36:37]                                   // 000000009254: BEFE0124
	v_mov_b32_e32 v6, v64                                      // 000000009258: 7E0C0340
	s_mov_b64 s[60:61], 0                                      // 00000000925C: BEBC0180
	v_readlane_b32 s82, v3, 20                                 // 000000009260: D2890052 00012903
	s_and_b32 s82, s82, 0xffffff                               // 000000009268: 8652FF52 00FFFFFF
	s_cmp_lt_u32 s82, s66                                      // 000000009270: BF0A4252
	s_cselect_b32 s20, s36, s60                                // 000000009274: 85143C24
	v_readlane_b32 s82, v3, 21                                 // 000000009278: D2890052 00012B03
	s_and_b32 s82, s82, 0xffffff                               // 000000009280: 8652FF52 00FFFFFF
	s_cmp_lt_u32 s82, s66                                      // 000000009288: BF0A4252
	s_cselect_b32 s21, s36, s60                                // 00000000928C: 85153C24
	s_mov_b64 exec, s[20:21]                                   // 000000009290: BEFE0114
	global_atomic_add_f32 v6, v108, s[8:9]                     // 000000009294: DD348000 00086C06
	global_atomic_add_f32 v6, v112, s[8:9] offset:256          // 00000000929C: DD348100 00087006
	s_mov_b64 exec, s[36:37]                                   // 0000000092A4: BEFE0124
	v_mov_b32_e32 v6, v65                                      // 0000000092A8: 7E0C0341
	s_mov_b64 s[60:61], 0                                      // 0000000092AC: BEBC0180
	v_readlane_b32 s82, v3, 22                                 // 0000000092B0: D2890052 00012D03
	s_and_b32 s82, s82, 0xffffff                               // 0000000092B8: 8652FF52 00FFFFFF
	s_cmp_lt_u32 s82, s66                                      // 0000000092C0: BF0A4252
	s_cselect_b32 s20, s36, s60                                // 0000000092C4: 85143C24
	v_readlane_b32 s82, v3, 23                                 // 0000000092C8: D2890052 00012F03
	s_and_b32 s82, s82, 0xffffff                               // 0000000092D0: 8652FF52 00FFFFFF
	s_cmp_lt_u32 s82, s66                                      // 0000000092D8: BF0A4252
	s_cselect_b32 s21, s36, s60                                // 0000000092DC: 85153C24
	s_mov_b64 exec, s[20:21]                                   // 0000000092E0: BEFE0114
	global_atomic_add_f32 v6, v109, s[8:9]                     // 0000000092E4: DD348000 00086D06
	global_atomic_add_f32 v6, v113, s[8:9] offset:256          // 0000000092EC: DD348100 00087106
	s_mov_b64 exec, s[36:37]                                   // 0000000092F4: BEFE0124
	ds_write_b64 v20, v[70:71]                                 // 0000000092F8: D89A0000 00004614
	ds_write_b64 v20, v[74:75] offset:4352                     // 000000009300: D89A1100 00004A14
	ds_write_b64 v20, v[78:79] offset:8704                     // 000000009308: D89A2200 00004E14
	ds_write_b64 v20, v[82:83] offset:13056                    // 000000009310: D89A3300 00005214
	ds_write_b64 v20, v[86:87] offset:17408                    // 000000009318: D89A4400 00005614
	ds_write_b64 v20, v[90:91] offset:21760                    // 000000009320: D89A5500 00005A14
	ds_write_b64 v20, v[94:95] offset:2176                     // 000000009328: D89A0880 00005E14
	ds_write_b64 v20, v[98:99] offset:6528                     // 000000009330: D89A1980 00006214
	ds_write_b64 v20, v[102:103] offset:10880                  // 000000009338: D89A2A80 00006614
	ds_write_b64 v20, v[106:107] offset:15232                  // 000000009340: D89A3B80 00006A14
	ds_write_b64 v20, v[110:111] offset:19584                  // 000000009348: D89A4C80 00006E14
	ds_write_b64 v20, v[114:115] offset:23936                  // 000000009350: D89A5D80 00007214
	s_waitcnt lgkmcnt(0)                                       // 000000009358: BF8CC07F
	s_barrier                                                  // 00000000935C: BF8A0000
	ds_read_b32 v70, v21                                       // 000000009360: D86C0000 46000015
	ds_read_b32 v71, v21 offset:64                             // 000000009368: D86C0040 47000015
	ds_read_b32 v74, v21 offset:2176                           // 000000009370: D86C0880 4A000015
	ds_read_b32 v75, v21 offset:2240                           // 000000009378: D86C08C0 4B000015
	ds_read_b32 v78, v21 offset:4352                           // 000000009380: D86C1100 4E000015
	ds_read_b32 v79, v21 offset:4416                           // 000000009388: D86C1140 4F000015
	ds_read_b32 v82, v21 offset:6528                           // 000000009390: D86C1980 52000015
	ds_read_b32 v83, v21 offset:6592                           // 000000009398: D86C19C0 53000015
	ds_read_b32 v86, v21 offset:8704                           // 0000000093A0: D86C2200 56000015
	ds_read_b32 v87, v21 offset:8768                           // 0000000093A8: D86C2240 57000015
	ds_read_b32 v90, v21 offset:10880                          // 0000000093B0: D86C2A80 5A000015
	ds_read_b32 v91, v21 offset:10944                          // 0000000093B8: D86C2AC0 5B000015
	ds_read_b32 v94, v21 offset:13056                          // 0000000093C0: D86C3300 5E000015
	ds_read_b32 v95, v21 offset:13120                          // 0000000093C8: D86C3340 5F000015
	ds_read_b32 v98, v21 offset:15232                          // 0000000093D0: D86C3B80 62000015
	ds_read_b32 v99, v21 offset:15296                          // 0000000093D8: D86C3BC0 63000015
	ds_read_b32 v102, v21 offset:17408                         // 0000000093E0: D86C4400 66000015
	ds_read_b32 v103, v21 offset:17472                         // 0000000093E8: D86C4440 67000015
	ds_read_b32 v106, v21 offset:19584                         // 0000000093F0: D86C4C80 6A000015
	ds_read_b32 v107, v21 offset:19648                         // 0000000093F8: D86C4CC0 6B000015
	ds_read_b32 v110, v21 offset:21760                         // 000000009400: D86C5500 6E000015
	ds_read_b32 v111, v21 offset:21824                         // 000000009408: D86C5540 6F000015
	ds_read_b32 v114, v21 offset:23936                         // 000000009410: D86C5D80 72000015
	ds_read_b32 v115, v21 offset:24000                         // 000000009418: D86C5DC0 73000015
	s_waitcnt lgkmcnt(0)                                       // 000000009420: BF8CC07F
	v_mov_b32_e32 v7, 0                                        // 000000009424: 7E0E0280
	s_mov_b64 exec, s[36:37]                                   // 000000009428: BEFE0124
	v_mov_b32_e32 v6, v54                                      // 00000000942C: 7E0C0336
	s_mov_b64 s[60:61], 0                                      // 000000009430: BEBC0180
	v_readlane_b32 s82, v3, 0                                  // 000000009434: D2890052 00010103
	s_and_b32 s82, s82, 0xffffff                               // 00000000943C: 8652FF52 00FFFFFF
	s_cmp_lt_u32 s82, s66                                      // 000000009444: BF0A4252
	s_cselect_b32 s20, s36, s60                                // 000000009448: 85143C24
	v_readlane_b32 s82, v3, 1                                  // 00000000944C: D2890052 00010303
	s_and_b32 s82, s82, 0xffffff                               // 000000009454: 8652FF52 00FFFFFF
	s_cmp_lt_u32 s82, s66                                      // 00000000945C: BF0A4252
	s_cselect_b32 s21, s36, s60                                // 000000009460: 85153C24
	s_mov_b64 exec, s[20:21]                                   // 000000009464: BEFE0114
	global_atomic_add_f32 v6, v70, s[8:9] offset:8             // 000000009468: DD348008 00084606
	global_atomic_add_f32 v6, v74, s[8:9] offset:264           // 000000009470: DD348108 00084A06
	s_mov_b64 exec, s[36:37]                                   // 000000009478: BEFE0124
	v_mov_b32_e32 v6, v55                                      // 00000000947C: 7E0C0337
	s_mov_b64 s[60:61], 0                                      // 000000009480: BEBC0180
	v_readlane_b32 s82, v3, 2                                  // 000000009484: D2890052 00010503
	s_and_b32 s82, s82, 0xffffff                               // 00000000948C: 8652FF52 00FFFFFF
	s_cmp_lt_u32 s82, s66                                      // 000000009494: BF0A4252
	s_cselect_b32 s20, s36, s60                                // 000000009498: 85143C24
	v_readlane_b32 s82, v3, 3                                  // 00000000949C: D2890052 00010703
	s_and_b32 s82, s82, 0xffffff                               // 0000000094A4: 8652FF52 00FFFFFF
	s_cmp_lt_u32 s82, s66                                      // 0000000094AC: BF0A4252
	s_cselect_b32 s21, s36, s60                                // 0000000094B0: 85153C24
	s_mov_b64 exec, s[20:21]                                   // 0000000094B4: BEFE0114
	global_atomic_add_f32 v6, v71, s[8:9] offset:8             // 0000000094B8: DD348008 00084706
	global_atomic_add_f32 v6, v75, s[8:9] offset:264           // 0000000094C0: DD348108 00084B06
	s_mov_b64 exec, s[36:37]                                   // 0000000094C8: BEFE0124
	v_mov_b32_e32 v6, v56                                      // 0000000094CC: 7E0C0338
	s_mov_b64 s[60:61], 0                                      // 0000000094D0: BEBC0180
	v_readlane_b32 s82, v3, 4                                  // 0000000094D4: D2890052 00010903
	s_and_b32 s82, s82, 0xffffff                               // 0000000094DC: 8652FF52 00FFFFFF
	s_cmp_lt_u32 s82, s66                                      // 0000000094E4: BF0A4252
	s_cselect_b32 s20, s36, s60                                // 0000000094E8: 85143C24
	v_readlane_b32 s82, v3, 5                                  // 0000000094EC: D2890052 00010B03
	s_and_b32 s82, s82, 0xffffff                               // 0000000094F4: 8652FF52 00FFFFFF
	s_cmp_lt_u32 s82, s66                                      // 0000000094FC: BF0A4252
	s_cselect_b32 s21, s36, s60                                // 000000009500: 85153C24
	s_mov_b64 exec, s[20:21]                                   // 000000009504: BEFE0114
	global_atomic_add_f32 v6, v78, s[8:9] offset:8             // 000000009508: DD348008 00084E06
	global_atomic_add_f32 v6, v82, s[8:9] offset:264           // 000000009510: DD348108 00085206
	s_mov_b64 exec, s[36:37]                                   // 000000009518: BEFE0124
	v_mov_b32_e32 v6, v57                                      // 00000000951C: 7E0C0339
	s_mov_b64 s[60:61], 0                                      // 000000009520: BEBC0180
	v_readlane_b32 s82, v3, 6                                  // 000000009524: D2890052 00010D03
	s_and_b32 s82, s82, 0xffffff                               // 00000000952C: 8652FF52 00FFFFFF
	s_cmp_lt_u32 s82, s66                                      // 000000009534: BF0A4252
	s_cselect_b32 s20, s36, s60                                // 000000009538: 85143C24
	v_readlane_b32 s82, v3, 7                                  // 00000000953C: D2890052 00010F03
	s_and_b32 s82, s82, 0xffffff                               // 000000009544: 8652FF52 00FFFFFF
	s_cmp_lt_u32 s82, s66                                      // 00000000954C: BF0A4252
	s_cselect_b32 s21, s36, s60                                // 000000009550: 85153C24
	s_mov_b64 exec, s[20:21]                                   // 000000009554: BEFE0114
	global_atomic_add_f32 v6, v79, s[8:9] offset:8             // 000000009558: DD348008 00084F06
	global_atomic_add_f32 v6, v83, s[8:9] offset:264           // 000000009560: DD348108 00085306
	s_mov_b64 exec, s[36:37]                                   // 000000009568: BEFE0124
	v_mov_b32_e32 v6, v58                                      // 00000000956C: 7E0C033A
	s_mov_b64 s[60:61], 0                                      // 000000009570: BEBC0180
	v_readlane_b32 s82, v3, 8                                  // 000000009574: D2890052 00011103
	s_and_b32 s82, s82, 0xffffff                               // 00000000957C: 8652FF52 00FFFFFF
	s_cmp_lt_u32 s82, s66                                      // 000000009584: BF0A4252
	s_cselect_b32 s20, s36, s60                                // 000000009588: 85143C24
	v_readlane_b32 s82, v3, 9                                  // 00000000958C: D2890052 00011303
	s_and_b32 s82, s82, 0xffffff                               // 000000009594: 8652FF52 00FFFFFF
	s_cmp_lt_u32 s82, s66                                      // 00000000959C: BF0A4252
	s_cselect_b32 s21, s36, s60                                // 0000000095A0: 85153C24
	s_mov_b64 exec, s[20:21]                                   // 0000000095A4: BEFE0114
	global_atomic_add_f32 v6, v86, s[8:9] offset:8             // 0000000095A8: DD348008 00085606
	global_atomic_add_f32 v6, v90, s[8:9] offset:264           // 0000000095B0: DD348108 00085A06
	s_mov_b64 exec, s[36:37]                                   // 0000000095B8: BEFE0124
	v_mov_b32_e32 v6, v59                                      // 0000000095BC: 7E0C033B
	s_mov_b64 s[60:61], 0                                      // 0000000095C0: BEBC0180
	v_readlane_b32 s82, v3, 10                                 // 0000000095C4: D2890052 00011503
	s_and_b32 s82, s82, 0xffffff                               // 0000000095CC: 8652FF52 00FFFFFF
	s_cmp_lt_u32 s82, s66                                      // 0000000095D4: BF0A4252
	s_cselect_b32 s20, s36, s60                                // 0000000095D8: 85143C24
	v_readlane_b32 s82, v3, 11                                 // 0000000095DC: D2890052 00011703
	s_and_b32 s82, s82, 0xffffff                               // 0000000095E4: 8652FF52 00FFFFFF
	s_cmp_lt_u32 s82, s66                                      // 0000000095EC: BF0A4252
	s_cselect_b32 s21, s36, s60                                // 0000000095F0: 85153C24
	s_mov_b64 exec, s[20:21]                                   // 0000000095F4: BEFE0114
	global_atomic_add_f32 v6, v87, s[8:9] offset:8             // 0000000095F8: DD348008 00085706
	global_atomic_add_f32 v6, v91, s[8:9] offset:264           // 000000009600: DD348108 00085B06
	s_mov_b64 exec, s[36:37]                                   // 000000009608: BEFE0124
	v_mov_b32_e32 v6, v60                                      // 00000000960C: 7E0C033C
	s_mov_b64 s[60:61], 0                                      // 000000009610: BEBC0180
	v_readlane_b32 s82, v3, 12                                 // 000000009614: D2890052 00011903
	s_and_b32 s82, s82, 0xffffff                               // 00000000961C: 8652FF52 00FFFFFF
	s_cmp_lt_u32 s82, s66                                      // 000000009624: BF0A4252
	s_cselect_b32 s20, s36, s60                                // 000000009628: 85143C24
	v_readlane_b32 s82, v3, 13                                 // 00000000962C: D2890052 00011B03
	s_and_b32 s82, s82, 0xffffff                               // 000000009634: 8652FF52 00FFFFFF
	s_cmp_lt_u32 s82, s66                                      // 00000000963C: BF0A4252
	s_cselect_b32 s21, s36, s60                                // 000000009640: 85153C24
	s_mov_b64 exec, s[20:21]                                   // 000000009644: BEFE0114
	global_atomic_add_f32 v6, v94, s[8:9] offset:8             // 000000009648: DD348008 00085E06
	global_atomic_add_f32 v6, v98, s[8:9] offset:264           // 000000009650: DD348108 00086206
	s_mov_b64 exec, s[36:37]                                   // 000000009658: BEFE0124
	v_mov_b32_e32 v6, v61                                      // 00000000965C: 7E0C033D
	s_mov_b64 s[60:61], 0                                      // 000000009660: BEBC0180
	v_readlane_b32 s82, v3, 14                                 // 000000009664: D2890052 00011D03
	s_and_b32 s82, s82, 0xffffff                               // 00000000966C: 8652FF52 00FFFFFF
	s_cmp_lt_u32 s82, s66                                      // 000000009674: BF0A4252
	s_cselect_b32 s20, s36, s60                                // 000000009678: 85143C24
	v_readlane_b32 s82, v3, 15                                 // 00000000967C: D2890052 00011F03
	s_and_b32 s82, s82, 0xffffff                               // 000000009684: 8652FF52 00FFFFFF
	s_cmp_lt_u32 s82, s66                                      // 00000000968C: BF0A4252
	s_cselect_b32 s21, s36, s60                                // 000000009690: 85153C24
	s_mov_b64 exec, s[20:21]                                   // 000000009694: BEFE0114
	global_atomic_add_f32 v6, v95, s[8:9] offset:8             // 000000009698: DD348008 00085F06
	global_atomic_add_f32 v6, v99, s[8:9] offset:264           // 0000000096A0: DD348108 00086306
	s_mov_b64 exec, s[36:37]                                   // 0000000096A8: BEFE0124
	v_mov_b32_e32 v6, v62                                      // 0000000096AC: 7E0C033E
	s_mov_b64 s[60:61], 0                                      // 0000000096B0: BEBC0180
	v_readlane_b32 s82, v3, 16                                 // 0000000096B4: D2890052 00012103
	s_and_b32 s82, s82, 0xffffff                               // 0000000096BC: 8652FF52 00FFFFFF
	s_cmp_lt_u32 s82, s66                                      // 0000000096C4: BF0A4252
	s_cselect_b32 s20, s36, s60                                // 0000000096C8: 85143C24
	v_readlane_b32 s82, v3, 17                                 // 0000000096CC: D2890052 00012303
	s_and_b32 s82, s82, 0xffffff                               // 0000000096D4: 8652FF52 00FFFFFF
	s_cmp_lt_u32 s82, s66                                      // 0000000096DC: BF0A4252
	s_cselect_b32 s21, s36, s60                                // 0000000096E0: 85153C24
	s_mov_b64 exec, s[20:21]                                   // 0000000096E4: BEFE0114
	global_atomic_add_f32 v6, v102, s[8:9] offset:8            // 0000000096E8: DD348008 00086606
	global_atomic_add_f32 v6, v106, s[8:9] offset:264          // 0000000096F0: DD348108 00086A06
	s_mov_b64 exec, s[36:37]                                   // 0000000096F8: BEFE0124
	v_mov_b32_e32 v6, v63                                      // 0000000096FC: 7E0C033F
	s_mov_b64 s[60:61], 0                                      // 000000009700: BEBC0180
	v_readlane_b32 s82, v3, 18                                 // 000000009704: D2890052 00012503
	s_and_b32 s82, s82, 0xffffff                               // 00000000970C: 8652FF52 00FFFFFF
	s_cmp_lt_u32 s82, s66                                      // 000000009714: BF0A4252
	s_cselect_b32 s20, s36, s60                                // 000000009718: 85143C24
	v_readlane_b32 s82, v3, 19                                 // 00000000971C: D2890052 00012703
	s_and_b32 s82, s82, 0xffffff                               // 000000009724: 8652FF52 00FFFFFF
	s_cmp_lt_u32 s82, s66                                      // 00000000972C: BF0A4252
	s_cselect_b32 s21, s36, s60                                // 000000009730: 85153C24
	s_mov_b64 exec, s[20:21]                                   // 000000009734: BEFE0114
	global_atomic_add_f32 v6, v103, s[8:9] offset:8            // 000000009738: DD348008 00086706
	global_atomic_add_f32 v6, v107, s[8:9] offset:264          // 000000009740: DD348108 00086B06
	s_mov_b64 exec, s[36:37]                                   // 000000009748: BEFE0124
	v_mov_b32_e32 v6, v64                                      // 00000000974C: 7E0C0340
	s_mov_b64 s[60:61], 0                                      // 000000009750: BEBC0180
	v_readlane_b32 s82, v3, 20                                 // 000000009754: D2890052 00012903
	s_and_b32 s82, s82, 0xffffff                               // 00000000975C: 8652FF52 00FFFFFF
	s_cmp_lt_u32 s82, s66                                      // 000000009764: BF0A4252
	s_cselect_b32 s20, s36, s60                                // 000000009768: 85143C24
	v_readlane_b32 s82, v3, 21                                 // 00000000976C: D2890052 00012B03
	s_and_b32 s82, s82, 0xffffff                               // 000000009774: 8652FF52 00FFFFFF
	s_cmp_lt_u32 s82, s66                                      // 00000000977C: BF0A4252
	s_cselect_b32 s21, s36, s60                                // 000000009780: 85153C24
	s_mov_b64 exec, s[20:21]                                   // 000000009784: BEFE0114
	global_atomic_add_f32 v6, v110, s[8:9] offset:8            // 000000009788: DD348008 00086E06
	global_atomic_add_f32 v6, v114, s[8:9] offset:264          // 000000009790: DD348108 00087206
	s_mov_b64 exec, s[36:37]                                   // 000000009798: BEFE0124
	v_mov_b32_e32 v6, v65                                      // 00000000979C: 7E0C0341
	s_mov_b64 s[60:61], 0                                      // 0000000097A0: BEBC0180
	v_readlane_b32 s82, v3, 22                                 // 0000000097A4: D2890052 00012D03
	s_and_b32 s82, s82, 0xffffff                               // 0000000097AC: 8652FF52 00FFFFFF
	s_cmp_lt_u32 s82, s66                                      // 0000000097B4: BF0A4252
	s_cselect_b32 s20, s36, s60                                // 0000000097B8: 85143C24
	v_readlane_b32 s82, v3, 23                                 // 0000000097BC: D2890052 00012F03
	s_and_b32 s82, s82, 0xffffff                               // 0000000097C4: 8652FF52 00FFFFFF
	s_cmp_lt_u32 s82, s66                                      // 0000000097CC: BF0A4252
	s_cselect_b32 s21, s36, s60                                // 0000000097D0: 85153C24
	s_mov_b64 exec, s[20:21]                                   // 0000000097D4: BEFE0114
	global_atomic_add_f32 v6, v111, s[8:9] offset:8            // 0000000097D8: DD348008 00086F06
	global_atomic_add_f32 v6, v115, s[8:9] offset:264          // 0000000097E0: DD348108 00087306
	s_mov_b64 exec, s[36:37]                                   // 0000000097E8: BEFE0124
	ds_write_b64 v20, v[116:117]                               // 0000000097EC: D89A0000 00007414
	ds_write_b64 v20, v[120:121] offset:4352                   // 0000000097F4: D89A1100 00007814
	ds_write_b64 v20, v[124:125] offset:8704                   // 0000000097FC: D89A2200 00007C14
	ds_write_b64 v20, v[128:129] offset:13056                  // 000000009804: D89A3300 00008014
	ds_write_b64 v20, v[132:133] offset:17408                  // 00000000980C: D89A4400 00008414
	ds_write_b64 v20, v[136:137] offset:21760                  // 000000009814: D89A5500 00008814
	ds_write_b64 v20, v[140:141] offset:2176                   // 00000000981C: D89A0880 00008C14
	ds_write_b64 v20, v[144:145] offset:6528                   // 000000009824: D89A1980 00009014
	ds_write_b64 v20, v[148:149] offset:10880                  // 00000000982C: D89A2A80 00009414
	ds_write_b64 v20, v[152:153] offset:15232                  // 000000009834: D89A3B80 00009814
	ds_write_b64 v20, v[156:157] offset:19584                  // 00000000983C: D89A4C80 00009C14
	ds_write_b64 v20, v[160:161] offset:23936                  // 000000009844: D89A5D80 0000A014
	s_waitcnt lgkmcnt(0)                                       // 00000000984C: BF8CC07F
	s_barrier                                                  // 000000009850: BF8A0000
	ds_read_b32 v116, v21                                      // 000000009854: D86C0000 74000015
	ds_read_b32 v117, v21 offset:64                            // 00000000985C: D86C0040 75000015
	ds_read_b32 v120, v21 offset:2176                          // 000000009864: D86C0880 78000015
	ds_read_b32 v121, v21 offset:2240                          // 00000000986C: D86C08C0 79000015
	ds_read_b32 v124, v21 offset:4352                          // 000000009874: D86C1100 7C000015
	ds_read_b32 v125, v21 offset:4416                          // 00000000987C: D86C1140 7D000015
	ds_read_b32 v128, v21 offset:6528                          // 000000009884: D86C1980 80000015
	ds_read_b32 v129, v21 offset:6592                          // 00000000988C: D86C19C0 81000015
	ds_read_b32 v132, v21 offset:8704                          // 000000009894: D86C2200 84000015
	ds_read_b32 v133, v21 offset:8768                          // 00000000989C: D86C2240 85000015
	ds_read_b32 v136, v21 offset:10880                         // 0000000098A4: D86C2A80 88000015
	ds_read_b32 v137, v21 offset:10944                         // 0000000098AC: D86C2AC0 89000015
	ds_read_b32 v140, v21 offset:13056                         // 0000000098B4: D86C3300 8C000015
	ds_read_b32 v141, v21 offset:13120                         // 0000000098BC: D86C3340 8D000015
	ds_read_b32 v144, v21 offset:15232                         // 0000000098C4: D86C3B80 90000015
	ds_read_b32 v145, v21 offset:15296                         // 0000000098CC: D86C3BC0 91000015
	ds_read_b32 v148, v21 offset:17408                         // 0000000098D4: D86C4400 94000015
	ds_read_b32 v149, v21 offset:17472                         // 0000000098DC: D86C4440 95000015
	ds_read_b32 v152, v21 offset:19584                         // 0000000098E4: D86C4C80 98000015
	ds_read_b32 v153, v21 offset:19648                         // 0000000098EC: D86C4CC0 99000015
	ds_read_b32 v156, v21 offset:21760                         // 0000000098F4: D86C5500 9C000015
	ds_read_b32 v157, v21 offset:21824                         // 0000000098FC: D86C5540 9D000015
	ds_read_b32 v160, v21 offset:23936                         // 000000009904: D86C5D80 A0000015
	ds_read_b32 v161, v21 offset:24000                         // 00000000990C: D86C5DC0 A1000015
	s_mul_i32 s60, s65, 4                                      // 000000009914: 923C8441
	s_add_u32 s8, s60, s8                                      // 000000009918: 8008083C
	s_addc_u32 s9, 0, s9                                       // 00000000991C: 82090980
	s_waitcnt lgkmcnt(0)                                       // 000000009920: BF8CC07F
	v_mov_b32_e32 v7, 0                                        // 000000009924: 7E0E0280
	s_mov_b64 exec, s[36:37]                                   // 000000009928: BEFE0124
	v_mov_b32_e32 v6, v54                                      // 00000000992C: 7E0C0336
	s_mov_b64 s[60:61], 0                                      // 000000009930: BEBC0180
	v_readlane_b32 s82, v3, 0                                  // 000000009934: D2890052 00010103
	s_and_b32 s82, s82, 0xffffff                               // 00000000993C: 8652FF52 00FFFFFF
	s_cmp_lt_u32 s82, s66                                      // 000000009944: BF0A4252
	s_cselect_b32 s20, s36, s60                                // 000000009948: 85143C24
	v_readlane_b32 s82, v3, 1                                  // 00000000994C: D2890052 00010303
	s_and_b32 s82, s82, 0xffffff                               // 000000009954: 8652FF52 00FFFFFF
	s_cmp_lt_u32 s82, s66                                      // 00000000995C: BF0A4252
	s_cselect_b32 s21, s36, s60                                // 000000009960: 85153C24
	s_mov_b64 exec, s[20:21]                                   // 000000009964: BEFE0114
	global_atomic_add_f32 v6, v116, s[8:9]                     // 000000009968: DD348000 00087406
	global_atomic_add_f32 v6, v120, s[8:9] offset:256          // 000000009970: DD348100 00087806
	s_mov_b64 exec, s[36:37]                                   // 000000009978: BEFE0124
	v_mov_b32_e32 v6, v55                                      // 00000000997C: 7E0C0337
	s_mov_b64 s[60:61], 0                                      // 000000009980: BEBC0180
	v_readlane_b32 s82, v3, 2                                  // 000000009984: D2890052 00010503
	s_and_b32 s82, s82, 0xffffff                               // 00000000998C: 8652FF52 00FFFFFF
	s_cmp_lt_u32 s82, s66                                      // 000000009994: BF0A4252
	s_cselect_b32 s20, s36, s60                                // 000000009998: 85143C24
	v_readlane_b32 s82, v3, 3                                  // 00000000999C: D2890052 00010703
	s_and_b32 s82, s82, 0xffffff                               // 0000000099A4: 8652FF52 00FFFFFF
	s_cmp_lt_u32 s82, s66                                      // 0000000099AC: BF0A4252
	s_cselect_b32 s21, s36, s60                                // 0000000099B0: 85153C24
	s_mov_b64 exec, s[20:21]                                   // 0000000099B4: BEFE0114
	global_atomic_add_f32 v6, v117, s[8:9]                     // 0000000099B8: DD348000 00087506
	global_atomic_add_f32 v6, v121, s[8:9] offset:256          // 0000000099C0: DD348100 00087906
	s_mov_b64 exec, s[36:37]                                   // 0000000099C8: BEFE0124
	v_mov_b32_e32 v6, v56                                      // 0000000099CC: 7E0C0338
	s_mov_b64 s[60:61], 0                                      // 0000000099D0: BEBC0180
	v_readlane_b32 s82, v3, 4                                  // 0000000099D4: D2890052 00010903
	s_and_b32 s82, s82, 0xffffff                               // 0000000099DC: 8652FF52 00FFFFFF
	s_cmp_lt_u32 s82, s66                                      // 0000000099E4: BF0A4252
	s_cselect_b32 s20, s36, s60                                // 0000000099E8: 85143C24
	v_readlane_b32 s82, v3, 5                                  // 0000000099EC: D2890052 00010B03
	s_and_b32 s82, s82, 0xffffff                               // 0000000099F4: 8652FF52 00FFFFFF
	s_cmp_lt_u32 s82, s66                                      // 0000000099FC: BF0A4252
	s_cselect_b32 s21, s36, s60                                // 000000009A00: 85153C24
	s_mov_b64 exec, s[20:21]                                   // 000000009A04: BEFE0114
	global_atomic_add_f32 v6, v124, s[8:9]                     // 000000009A08: DD348000 00087C06
	global_atomic_add_f32 v6, v128, s[8:9] offset:256          // 000000009A10: DD348100 00088006
	s_mov_b64 exec, s[36:37]                                   // 000000009A18: BEFE0124
	v_mov_b32_e32 v6, v57                                      // 000000009A1C: 7E0C0339
	s_mov_b64 s[60:61], 0                                      // 000000009A20: BEBC0180
	v_readlane_b32 s82, v3, 6                                  // 000000009A24: D2890052 00010D03
	s_and_b32 s82, s82, 0xffffff                               // 000000009A2C: 8652FF52 00FFFFFF
	s_cmp_lt_u32 s82, s66                                      // 000000009A34: BF0A4252
	s_cselect_b32 s20, s36, s60                                // 000000009A38: 85143C24
	v_readlane_b32 s82, v3, 7                                  // 000000009A3C: D2890052 00010F03
	s_and_b32 s82, s82, 0xffffff                               // 000000009A44: 8652FF52 00FFFFFF
	s_cmp_lt_u32 s82, s66                                      // 000000009A4C: BF0A4252
	s_cselect_b32 s21, s36, s60                                // 000000009A50: 85153C24
	s_mov_b64 exec, s[20:21]                                   // 000000009A54: BEFE0114
	global_atomic_add_f32 v6, v125, s[8:9]                     // 000000009A58: DD348000 00087D06
	global_atomic_add_f32 v6, v129, s[8:9] offset:256          // 000000009A60: DD348100 00088106
	s_mov_b64 exec, s[36:37]                                   // 000000009A68: BEFE0124
	v_mov_b32_e32 v6, v58                                      // 000000009A6C: 7E0C033A
	s_mov_b64 s[60:61], 0                                      // 000000009A70: BEBC0180
	v_readlane_b32 s82, v3, 8                                  // 000000009A74: D2890052 00011103
	s_and_b32 s82, s82, 0xffffff                               // 000000009A7C: 8652FF52 00FFFFFF
	s_cmp_lt_u32 s82, s66                                      // 000000009A84: BF0A4252
	s_cselect_b32 s20, s36, s60                                // 000000009A88: 85143C24
	v_readlane_b32 s82, v3, 9                                  // 000000009A8C: D2890052 00011303
	s_and_b32 s82, s82, 0xffffff                               // 000000009A94: 8652FF52 00FFFFFF
	s_cmp_lt_u32 s82, s66                                      // 000000009A9C: BF0A4252
	s_cselect_b32 s21, s36, s60                                // 000000009AA0: 85153C24
	s_mov_b64 exec, s[20:21]                                   // 000000009AA4: BEFE0114
	global_atomic_add_f32 v6, v132, s[8:9]                     // 000000009AA8: DD348000 00088406
	global_atomic_add_f32 v6, v136, s[8:9] offset:256          // 000000009AB0: DD348100 00088806
	s_mov_b64 exec, s[36:37]                                   // 000000009AB8: BEFE0124
	v_mov_b32_e32 v6, v59                                      // 000000009ABC: 7E0C033B
	s_mov_b64 s[60:61], 0                                      // 000000009AC0: BEBC0180
	v_readlane_b32 s82, v3, 10                                 // 000000009AC4: D2890052 00011503
	s_and_b32 s82, s82, 0xffffff                               // 000000009ACC: 8652FF52 00FFFFFF
	s_cmp_lt_u32 s82, s66                                      // 000000009AD4: BF0A4252
	s_cselect_b32 s20, s36, s60                                // 000000009AD8: 85143C24
	v_readlane_b32 s82, v3, 11                                 // 000000009ADC: D2890052 00011703
	s_and_b32 s82, s82, 0xffffff                               // 000000009AE4: 8652FF52 00FFFFFF
	s_cmp_lt_u32 s82, s66                                      // 000000009AEC: BF0A4252
	s_cselect_b32 s21, s36, s60                                // 000000009AF0: 85153C24
	s_mov_b64 exec, s[20:21]                                   // 000000009AF4: BEFE0114
	global_atomic_add_f32 v6, v133, s[8:9]                     // 000000009AF8: DD348000 00088506
	global_atomic_add_f32 v6, v137, s[8:9] offset:256          // 000000009B00: DD348100 00088906
	s_mov_b64 exec, s[36:37]                                   // 000000009B08: BEFE0124
	v_mov_b32_e32 v6, v60                                      // 000000009B0C: 7E0C033C
	s_mov_b64 s[60:61], 0                                      // 000000009B10: BEBC0180
	v_readlane_b32 s82, v3, 12                                 // 000000009B14: D2890052 00011903
	s_and_b32 s82, s82, 0xffffff                               // 000000009B1C: 8652FF52 00FFFFFF
	s_cmp_lt_u32 s82, s66                                      // 000000009B24: BF0A4252
	s_cselect_b32 s20, s36, s60                                // 000000009B28: 85143C24
	v_readlane_b32 s82, v3, 13                                 // 000000009B2C: D2890052 00011B03
	s_and_b32 s82, s82, 0xffffff                               // 000000009B34: 8652FF52 00FFFFFF
	s_cmp_lt_u32 s82, s66                                      // 000000009B3C: BF0A4252
	s_cselect_b32 s21, s36, s60                                // 000000009B40: 85153C24
	s_mov_b64 exec, s[20:21]                                   // 000000009B44: BEFE0114
	global_atomic_add_f32 v6, v140, s[8:9]                     // 000000009B48: DD348000 00088C06
	global_atomic_add_f32 v6, v144, s[8:9] offset:256          // 000000009B50: DD348100 00089006
	s_mov_b64 exec, s[36:37]                                   // 000000009B58: BEFE0124
	v_mov_b32_e32 v6, v61                                      // 000000009B5C: 7E0C033D
	s_mov_b64 s[60:61], 0                                      // 000000009B60: BEBC0180
	v_readlane_b32 s82, v3, 14                                 // 000000009B64: D2890052 00011D03
	s_and_b32 s82, s82, 0xffffff                               // 000000009B6C: 8652FF52 00FFFFFF
	s_cmp_lt_u32 s82, s66                                      // 000000009B74: BF0A4252
	s_cselect_b32 s20, s36, s60                                // 000000009B78: 85143C24
	v_readlane_b32 s82, v3, 15                                 // 000000009B7C: D2890052 00011F03
	s_and_b32 s82, s82, 0xffffff                               // 000000009B84: 8652FF52 00FFFFFF
	s_cmp_lt_u32 s82, s66                                      // 000000009B8C: BF0A4252
	s_cselect_b32 s21, s36, s60                                // 000000009B90: 85153C24
	s_mov_b64 exec, s[20:21]                                   // 000000009B94: BEFE0114
	global_atomic_add_f32 v6, v141, s[8:9]                     // 000000009B98: DD348000 00088D06
	global_atomic_add_f32 v6, v145, s[8:9] offset:256          // 000000009BA0: DD348100 00089106
	s_mov_b64 exec, s[36:37]                                   // 000000009BA8: BEFE0124
	v_mov_b32_e32 v6, v62                                      // 000000009BAC: 7E0C033E
	s_mov_b64 s[60:61], 0                                      // 000000009BB0: BEBC0180
	v_readlane_b32 s82, v3, 16                                 // 000000009BB4: D2890052 00012103
	s_and_b32 s82, s82, 0xffffff                               // 000000009BBC: 8652FF52 00FFFFFF
	s_cmp_lt_u32 s82, s66                                      // 000000009BC4: BF0A4252
	s_cselect_b32 s20, s36, s60                                // 000000009BC8: 85143C24
	v_readlane_b32 s82, v3, 17                                 // 000000009BCC: D2890052 00012303
	s_and_b32 s82, s82, 0xffffff                               // 000000009BD4: 8652FF52 00FFFFFF
	s_cmp_lt_u32 s82, s66                                      // 000000009BDC: BF0A4252
	s_cselect_b32 s21, s36, s60                                // 000000009BE0: 85153C24
	s_mov_b64 exec, s[20:21]                                   // 000000009BE4: BEFE0114
	global_atomic_add_f32 v6, v148, s[8:9]                     // 000000009BE8: DD348000 00089406
	global_atomic_add_f32 v6, v152, s[8:9] offset:256          // 000000009BF0: DD348100 00089806
	s_mov_b64 exec, s[36:37]                                   // 000000009BF8: BEFE0124
	v_mov_b32_e32 v6, v63                                      // 000000009BFC: 7E0C033F
	s_mov_b64 s[60:61], 0                                      // 000000009C00: BEBC0180
	v_readlane_b32 s82, v3, 18                                 // 000000009C04: D2890052 00012503
	s_and_b32 s82, s82, 0xffffff                               // 000000009C0C: 8652FF52 00FFFFFF
	s_cmp_lt_u32 s82, s66                                      // 000000009C14: BF0A4252
	s_cselect_b32 s20, s36, s60                                // 000000009C18: 85143C24
	v_readlane_b32 s82, v3, 19                                 // 000000009C1C: D2890052 00012703
	s_and_b32 s82, s82, 0xffffff                               // 000000009C24: 8652FF52 00FFFFFF
	s_cmp_lt_u32 s82, s66                                      // 000000009C2C: BF0A4252
	s_cselect_b32 s21, s36, s60                                // 000000009C30: 85153C24
	s_mov_b64 exec, s[20:21]                                   // 000000009C34: BEFE0114
	global_atomic_add_f32 v6, v149, s[8:9]                     // 000000009C38: DD348000 00089506
	global_atomic_add_f32 v6, v153, s[8:9] offset:256          // 000000009C40: DD348100 00089906
	s_mov_b64 exec, s[36:37]                                   // 000000009C48: BEFE0124
	v_mov_b32_e32 v6, v64                                      // 000000009C4C: 7E0C0340
	s_mov_b64 s[60:61], 0                                      // 000000009C50: BEBC0180
	v_readlane_b32 s82, v3, 20                                 // 000000009C54: D2890052 00012903
	s_and_b32 s82, s82, 0xffffff                               // 000000009C5C: 8652FF52 00FFFFFF
	s_cmp_lt_u32 s82, s66                                      // 000000009C64: BF0A4252
	s_cselect_b32 s20, s36, s60                                // 000000009C68: 85143C24
	v_readlane_b32 s82, v3, 21                                 // 000000009C6C: D2890052 00012B03
	s_and_b32 s82, s82, 0xffffff                               // 000000009C74: 8652FF52 00FFFFFF
	s_cmp_lt_u32 s82, s66                                      // 000000009C7C: BF0A4252
	s_cselect_b32 s21, s36, s60                                // 000000009C80: 85153C24
	s_mov_b64 exec, s[20:21]                                   // 000000009C84: BEFE0114
	global_atomic_add_f32 v6, v156, s[8:9]                     // 000000009C88: DD348000 00089C06
	global_atomic_add_f32 v6, v160, s[8:9] offset:256          // 000000009C90: DD348100 0008A006
	s_mov_b64 exec, s[36:37]                                   // 000000009C98: BEFE0124
	v_mov_b32_e32 v6, v65                                      // 000000009C9C: 7E0C0341
	s_mov_b64 s[60:61], 0                                      // 000000009CA0: BEBC0180
	v_readlane_b32 s82, v3, 22                                 // 000000009CA4: D2890052 00012D03
	s_and_b32 s82, s82, 0xffffff                               // 000000009CAC: 8652FF52 00FFFFFF
	s_cmp_lt_u32 s82, s66                                      // 000000009CB4: BF0A4252
	s_cselect_b32 s20, s36, s60                                // 000000009CB8: 85143C24
	v_readlane_b32 s82, v3, 23                                 // 000000009CBC: D2890052 00012F03
	s_and_b32 s82, s82, 0xffffff                               // 000000009CC4: 8652FF52 00FFFFFF
	s_cmp_lt_u32 s82, s66                                      // 000000009CCC: BF0A4252
	s_cselect_b32 s21, s36, s60                                // 000000009CD0: 85153C24
	s_mov_b64 exec, s[20:21]                                   // 000000009CD4: BEFE0114
	global_atomic_add_f32 v6, v157, s[8:9]                     // 000000009CD8: DD348000 00089D06
	global_atomic_add_f32 v6, v161, s[8:9] offset:256          // 000000009CE0: DD348100 0008A106
	s_mov_b64 exec, s[36:37]                                   // 000000009CE8: BEFE0124
	ds_write_b64 v20, v[118:119]                               // 000000009CEC: D89A0000 00007614
	ds_write_b64 v20, v[122:123] offset:4352                   // 000000009CF4: D89A1100 00007A14
	ds_write_b64 v20, v[126:127] offset:8704                   // 000000009CFC: D89A2200 00007E14
	ds_write_b64 v20, v[130:131] offset:13056                  // 000000009D04: D89A3300 00008214
	ds_write_b64 v20, v[134:135] offset:17408                  // 000000009D0C: D89A4400 00008614
	ds_write_b64 v20, v[138:139] offset:21760                  // 000000009D14: D89A5500 00008A14
	ds_write_b64 v20, v[142:143] offset:2176                   // 000000009D1C: D89A0880 00008E14
	ds_write_b64 v20, v[146:147] offset:6528                   // 000000009D24: D89A1980 00009214
	ds_write_b64 v20, v[150:151] offset:10880                  // 000000009D2C: D89A2A80 00009614
	ds_write_b64 v20, v[154:155] offset:15232                  // 000000009D34: D89A3B80 00009A14
	ds_write_b64 v20, v[158:159] offset:19584                  // 000000009D3C: D89A4C80 00009E14
	ds_write_b64 v20, v[162:163] offset:23936                  // 000000009D44: D89A5D80 0000A214
	s_waitcnt lgkmcnt(0)                                       // 000000009D4C: BF8CC07F
	s_barrier                                                  // 000000009D50: BF8A0000
	ds_read_b32 v118, v21                                      // 000000009D54: D86C0000 76000015
	ds_read_b32 v119, v21 offset:64                            // 000000009D5C: D86C0040 77000015
	ds_read_b32 v122, v21 offset:2176                          // 000000009D64: D86C0880 7A000015
	ds_read_b32 v123, v21 offset:2240                          // 000000009D6C: D86C08C0 7B000015
	ds_read_b32 v126, v21 offset:4352                          // 000000009D74: D86C1100 7E000015
	ds_read_b32 v127, v21 offset:4416                          // 000000009D7C: D86C1140 7F000015
	ds_read_b32 v130, v21 offset:6528                          // 000000009D84: D86C1980 82000015
	ds_read_b32 v131, v21 offset:6592                          // 000000009D8C: D86C19C0 83000015
	ds_read_b32 v134, v21 offset:8704                          // 000000009D94: D86C2200 86000015
	ds_read_b32 v135, v21 offset:8768                          // 000000009D9C: D86C2240 87000015
	ds_read_b32 v138, v21 offset:10880                         // 000000009DA4: D86C2A80 8A000015
	ds_read_b32 v139, v21 offset:10944                         // 000000009DAC: D86C2AC0 8B000015
	ds_read_b32 v142, v21 offset:13056                         // 000000009DB4: D86C3300 8E000015
	ds_read_b32 v143, v21 offset:13120                         // 000000009DBC: D86C3340 8F000015
	ds_read_b32 v146, v21 offset:15232                         // 000000009DC4: D86C3B80 92000015
	ds_read_b32 v147, v21 offset:15296                         // 000000009DCC: D86C3BC0 93000015
	ds_read_b32 v150, v21 offset:17408                         // 000000009DD4: D86C4400 96000015
	ds_read_b32 v151, v21 offset:17472                         // 000000009DDC: D86C4440 97000015
	ds_read_b32 v154, v21 offset:19584                         // 000000009DE4: D86C4C80 9A000015
	ds_read_b32 v155, v21 offset:19648                         // 000000009DEC: D86C4CC0 9B000015
	ds_read_b32 v158, v21 offset:21760                         // 000000009DF4: D86C5500 9E000015
	ds_read_b32 v159, v21 offset:21824                         // 000000009DFC: D86C5540 9F000015
	ds_read_b32 v162, v21 offset:23936                         // 000000009E04: D86C5D80 A2000015
	ds_read_b32 v163, v21 offset:24000                         // 000000009E0C: D86C5DC0 A3000015
	s_waitcnt lgkmcnt(0)                                       // 000000009E14: BF8CC07F
	v_mov_b32_e32 v7, 0                                        // 000000009E18: 7E0E0280
	s_mov_b64 exec, s[36:37]                                   // 000000009E1C: BEFE0124
	v_mov_b32_e32 v6, v54                                      // 000000009E20: 7E0C0336
	s_mov_b64 s[60:61], 0                                      // 000000009E24: BEBC0180
	v_readlane_b32 s82, v3, 0                                  // 000000009E28: D2890052 00010103
	s_and_b32 s82, s82, 0xffffff                               // 000000009E30: 8652FF52 00FFFFFF
	s_cmp_lt_u32 s82, s66                                      // 000000009E38: BF0A4252
	s_cselect_b32 s20, s36, s60                                // 000000009E3C: 85143C24
	v_readlane_b32 s82, v3, 1                                  // 000000009E40: D2890052 00010303
	s_and_b32 s82, s82, 0xffffff                               // 000000009E48: 8652FF52 00FFFFFF
	s_cmp_lt_u32 s82, s66                                      // 000000009E50: BF0A4252
	s_cselect_b32 s21, s36, s60                                // 000000009E54: 85153C24
	s_mov_b64 exec, s[20:21]                                   // 000000009E58: BEFE0114
	global_atomic_add_f32 v6, v118, s[8:9] offset:8            // 000000009E5C: DD348008 00087606
	global_atomic_add_f32 v6, v122, s[8:9] offset:264          // 000000009E64: DD348108 00087A06
	s_mov_b64 exec, s[36:37]                                   // 000000009E6C: BEFE0124
	v_mov_b32_e32 v6, v55                                      // 000000009E70: 7E0C0337
	s_mov_b64 s[60:61], 0                                      // 000000009E74: BEBC0180
	v_readlane_b32 s82, v3, 2                                  // 000000009E78: D2890052 00010503
	s_and_b32 s82, s82, 0xffffff                               // 000000009E80: 8652FF52 00FFFFFF
	s_cmp_lt_u32 s82, s66                                      // 000000009E88: BF0A4252
	s_cselect_b32 s20, s36, s60                                // 000000009E8C: 85143C24
	v_readlane_b32 s82, v3, 3                                  // 000000009E90: D2890052 00010703
	s_and_b32 s82, s82, 0xffffff                               // 000000009E98: 8652FF52 00FFFFFF
	s_cmp_lt_u32 s82, s66                                      // 000000009EA0: BF0A4252
	s_cselect_b32 s21, s36, s60                                // 000000009EA4: 85153C24
	s_mov_b64 exec, s[20:21]                                   // 000000009EA8: BEFE0114
	global_atomic_add_f32 v6, v119, s[8:9] offset:8            // 000000009EAC: DD348008 00087706
	global_atomic_add_f32 v6, v123, s[8:9] offset:264          // 000000009EB4: DD348108 00087B06
	s_mov_b64 exec, s[36:37]                                   // 000000009EBC: BEFE0124
	v_mov_b32_e32 v6, v56                                      // 000000009EC0: 7E0C0338
	s_mov_b64 s[60:61], 0                                      // 000000009EC4: BEBC0180
	v_readlane_b32 s82, v3, 4                                  // 000000009EC8: D2890052 00010903
	s_and_b32 s82, s82, 0xffffff                               // 000000009ED0: 8652FF52 00FFFFFF
	s_cmp_lt_u32 s82, s66                                      // 000000009ED8: BF0A4252
	s_cselect_b32 s20, s36, s60                                // 000000009EDC: 85143C24
	v_readlane_b32 s82, v3, 5                                  // 000000009EE0: D2890052 00010B03
	s_and_b32 s82, s82, 0xffffff                               // 000000009EE8: 8652FF52 00FFFFFF
	s_cmp_lt_u32 s82, s66                                      // 000000009EF0: BF0A4252
	s_cselect_b32 s21, s36, s60                                // 000000009EF4: 85153C24
	s_mov_b64 exec, s[20:21]                                   // 000000009EF8: BEFE0114
	global_atomic_add_f32 v6, v126, s[8:9] offset:8            // 000000009EFC: DD348008 00087E06
	global_atomic_add_f32 v6, v130, s[8:9] offset:264          // 000000009F04: DD348108 00088206
	s_mov_b64 exec, s[36:37]                                   // 000000009F0C: BEFE0124
	v_mov_b32_e32 v6, v57                                      // 000000009F10: 7E0C0339
	s_mov_b64 s[60:61], 0                                      // 000000009F14: BEBC0180
	v_readlane_b32 s82, v3, 6                                  // 000000009F18: D2890052 00010D03
	s_and_b32 s82, s82, 0xffffff                               // 000000009F20: 8652FF52 00FFFFFF
	s_cmp_lt_u32 s82, s66                                      // 000000009F28: BF0A4252
	s_cselect_b32 s20, s36, s60                                // 000000009F2C: 85143C24
	v_readlane_b32 s82, v3, 7                                  // 000000009F30: D2890052 00010F03
	s_and_b32 s82, s82, 0xffffff                               // 000000009F38: 8652FF52 00FFFFFF
	s_cmp_lt_u32 s82, s66                                      // 000000009F40: BF0A4252
	s_cselect_b32 s21, s36, s60                                // 000000009F44: 85153C24
	s_mov_b64 exec, s[20:21]                                   // 000000009F48: BEFE0114
	global_atomic_add_f32 v6, v127, s[8:9] offset:8            // 000000009F4C: DD348008 00087F06
	global_atomic_add_f32 v6, v131, s[8:9] offset:264          // 000000009F54: DD348108 00088306
	s_mov_b64 exec, s[36:37]                                   // 000000009F5C: BEFE0124
	v_mov_b32_e32 v6, v58                                      // 000000009F60: 7E0C033A
	s_mov_b64 s[60:61], 0                                      // 000000009F64: BEBC0180
	v_readlane_b32 s82, v3, 8                                  // 000000009F68: D2890052 00011103
	s_and_b32 s82, s82, 0xffffff                               // 000000009F70: 8652FF52 00FFFFFF
	s_cmp_lt_u32 s82, s66                                      // 000000009F78: BF0A4252
	s_cselect_b32 s20, s36, s60                                // 000000009F7C: 85143C24
	v_readlane_b32 s82, v3, 9                                  // 000000009F80: D2890052 00011303
	s_and_b32 s82, s82, 0xffffff                               // 000000009F88: 8652FF52 00FFFFFF
	s_cmp_lt_u32 s82, s66                                      // 000000009F90: BF0A4252
	s_cselect_b32 s21, s36, s60                                // 000000009F94: 85153C24
	s_mov_b64 exec, s[20:21]                                   // 000000009F98: BEFE0114
	global_atomic_add_f32 v6, v134, s[8:9] offset:8            // 000000009F9C: DD348008 00088606
	global_atomic_add_f32 v6, v138, s[8:9] offset:264          // 000000009FA4: DD348108 00088A06
	s_mov_b64 exec, s[36:37]                                   // 000000009FAC: BEFE0124
	v_mov_b32_e32 v6, v59                                      // 000000009FB0: 7E0C033B
	s_mov_b64 s[60:61], 0                                      // 000000009FB4: BEBC0180
	v_readlane_b32 s82, v3, 10                                 // 000000009FB8: D2890052 00011503
	s_and_b32 s82, s82, 0xffffff                               // 000000009FC0: 8652FF52 00FFFFFF
	s_cmp_lt_u32 s82, s66                                      // 000000009FC8: BF0A4252
	s_cselect_b32 s20, s36, s60                                // 000000009FCC: 85143C24
	v_readlane_b32 s82, v3, 11                                 // 000000009FD0: D2890052 00011703
	s_and_b32 s82, s82, 0xffffff                               // 000000009FD8: 8652FF52 00FFFFFF
	s_cmp_lt_u32 s82, s66                                      // 000000009FE0: BF0A4252
	s_cselect_b32 s21, s36, s60                                // 000000009FE4: 85153C24
	s_mov_b64 exec, s[20:21]                                   // 000000009FE8: BEFE0114
	global_atomic_add_f32 v6, v135, s[8:9] offset:8            // 000000009FEC: DD348008 00088706
	global_atomic_add_f32 v6, v139, s[8:9] offset:264          // 000000009FF4: DD348108 00088B06
	s_mov_b64 exec, s[36:37]                                   // 000000009FFC: BEFE0124
	v_mov_b32_e32 v6, v60                                      // 00000000A000: 7E0C033C
	s_mov_b64 s[60:61], 0                                      // 00000000A004: BEBC0180
	v_readlane_b32 s82, v3, 12                                 // 00000000A008: D2890052 00011903
	s_and_b32 s82, s82, 0xffffff                               // 00000000A010: 8652FF52 00FFFFFF
	s_cmp_lt_u32 s82, s66                                      // 00000000A018: BF0A4252
	s_cselect_b32 s20, s36, s60                                // 00000000A01C: 85143C24
	v_readlane_b32 s82, v3, 13                                 // 00000000A020: D2890052 00011B03
	s_and_b32 s82, s82, 0xffffff                               // 00000000A028: 8652FF52 00FFFFFF
	s_cmp_lt_u32 s82, s66                                      // 00000000A030: BF0A4252
	s_cselect_b32 s21, s36, s60                                // 00000000A034: 85153C24
	s_mov_b64 exec, s[20:21]                                   // 00000000A038: BEFE0114
	global_atomic_add_f32 v6, v142, s[8:9] offset:8            // 00000000A03C: DD348008 00088E06
	global_atomic_add_f32 v6, v146, s[8:9] offset:264          // 00000000A044: DD348108 00089206
	s_mov_b64 exec, s[36:37]                                   // 00000000A04C: BEFE0124
	v_mov_b32_e32 v6, v61                                      // 00000000A050: 7E0C033D
	s_mov_b64 s[60:61], 0                                      // 00000000A054: BEBC0180
	v_readlane_b32 s82, v3, 14                                 // 00000000A058: D2890052 00011D03
	s_and_b32 s82, s82, 0xffffff                               // 00000000A060: 8652FF52 00FFFFFF
	s_cmp_lt_u32 s82, s66                                      // 00000000A068: BF0A4252
	s_cselect_b32 s20, s36, s60                                // 00000000A06C: 85143C24
	v_readlane_b32 s82, v3, 15                                 // 00000000A070: D2890052 00011F03
	s_and_b32 s82, s82, 0xffffff                               // 00000000A078: 8652FF52 00FFFFFF
	s_cmp_lt_u32 s82, s66                                      // 00000000A080: BF0A4252
	s_cselect_b32 s21, s36, s60                                // 00000000A084: 85153C24
	s_mov_b64 exec, s[20:21]                                   // 00000000A088: BEFE0114
	global_atomic_add_f32 v6, v143, s[8:9] offset:8            // 00000000A08C: DD348008 00088F06
	global_atomic_add_f32 v6, v147, s[8:9] offset:264          // 00000000A094: DD348108 00089306
	s_mov_b64 exec, s[36:37]                                   // 00000000A09C: BEFE0124
	v_mov_b32_e32 v6, v62                                      // 00000000A0A0: 7E0C033E
	s_mov_b64 s[60:61], 0                                      // 00000000A0A4: BEBC0180
	v_readlane_b32 s82, v3, 16                                 // 00000000A0A8: D2890052 00012103
	s_and_b32 s82, s82, 0xffffff                               // 00000000A0B0: 8652FF52 00FFFFFF
	s_cmp_lt_u32 s82, s66                                      // 00000000A0B8: BF0A4252
	s_cselect_b32 s20, s36, s60                                // 00000000A0BC: 85143C24
	v_readlane_b32 s82, v3, 17                                 // 00000000A0C0: D2890052 00012303
	s_and_b32 s82, s82, 0xffffff                               // 00000000A0C8: 8652FF52 00FFFFFF
	s_cmp_lt_u32 s82, s66                                      // 00000000A0D0: BF0A4252
	s_cselect_b32 s21, s36, s60                                // 00000000A0D4: 85153C24
	s_mov_b64 exec, s[20:21]                                   // 00000000A0D8: BEFE0114
	global_atomic_add_f32 v6, v150, s[8:9] offset:8            // 00000000A0DC: DD348008 00089606
	global_atomic_add_f32 v6, v154, s[8:9] offset:264          // 00000000A0E4: DD348108 00089A06
	s_mov_b64 exec, s[36:37]                                   // 00000000A0EC: BEFE0124
	v_mov_b32_e32 v6, v63                                      // 00000000A0F0: 7E0C033F
	s_mov_b64 s[60:61], 0                                      // 00000000A0F4: BEBC0180
	v_readlane_b32 s82, v3, 18                                 // 00000000A0F8: D2890052 00012503
	s_and_b32 s82, s82, 0xffffff                               // 00000000A100: 8652FF52 00FFFFFF
	s_cmp_lt_u32 s82, s66                                      // 00000000A108: BF0A4252
	s_cselect_b32 s20, s36, s60                                // 00000000A10C: 85143C24
	v_readlane_b32 s82, v3, 19                                 // 00000000A110: D2890052 00012703
	s_and_b32 s82, s82, 0xffffff                               // 00000000A118: 8652FF52 00FFFFFF
	s_cmp_lt_u32 s82, s66                                      // 00000000A120: BF0A4252
	s_cselect_b32 s21, s36, s60                                // 00000000A124: 85153C24
	s_mov_b64 exec, s[20:21]                                   // 00000000A128: BEFE0114
	global_atomic_add_f32 v6, v151, s[8:9] offset:8            // 00000000A12C: DD348008 00089706
	global_atomic_add_f32 v6, v155, s[8:9] offset:264          // 00000000A134: DD348108 00089B06
	s_mov_b64 exec, s[36:37]                                   // 00000000A13C: BEFE0124
	v_mov_b32_e32 v6, v64                                      // 00000000A140: 7E0C0340
	s_mov_b64 s[60:61], 0                                      // 00000000A144: BEBC0180
	v_readlane_b32 s82, v3, 20                                 // 00000000A148: D2890052 00012903
	s_and_b32 s82, s82, 0xffffff                               // 00000000A150: 8652FF52 00FFFFFF
	s_cmp_lt_u32 s82, s66                                      // 00000000A158: BF0A4252
	s_cselect_b32 s20, s36, s60                                // 00000000A15C: 85143C24
	v_readlane_b32 s82, v3, 21                                 // 00000000A160: D2890052 00012B03
	s_and_b32 s82, s82, 0xffffff                               // 00000000A168: 8652FF52 00FFFFFF
	s_cmp_lt_u32 s82, s66                                      // 00000000A170: BF0A4252
	s_cselect_b32 s21, s36, s60                                // 00000000A174: 85153C24
	s_mov_b64 exec, s[20:21]                                   // 00000000A178: BEFE0114
	global_atomic_add_f32 v6, v158, s[8:9] offset:8            // 00000000A17C: DD348008 00089E06
	global_atomic_add_f32 v6, v162, s[8:9] offset:264          // 00000000A184: DD348108 0008A206
	s_mov_b64 exec, s[36:37]                                   // 00000000A18C: BEFE0124
	v_mov_b32_e32 v6, v65                                      // 00000000A190: 7E0C0341
	s_mov_b64 s[60:61], 0                                      // 00000000A194: BEBC0180
	v_readlane_b32 s82, v3, 22                                 // 00000000A198: D2890052 00012D03
	s_and_b32 s82, s82, 0xffffff                               // 00000000A1A0: 8652FF52 00FFFFFF
	s_cmp_lt_u32 s82, s66                                      // 00000000A1A8: BF0A4252
	s_cselect_b32 s20, s36, s60                                // 00000000A1AC: 85143C24
	v_readlane_b32 s82, v3, 23                                 // 00000000A1B0: D2890052 00012F03
	s_and_b32 s82, s82, 0xffffff                               // 00000000A1B8: 8652FF52 00FFFFFF
	s_cmp_lt_u32 s82, s66                                      // 00000000A1C0: BF0A4252
	s_cselect_b32 s21, s36, s60                                // 00000000A1C4: 85153C24
	s_mov_b64 exec, s[20:21]                                   // 00000000A1C8: BEFE0114
	global_atomic_add_f32 v6, v159, s[8:9] offset:8            // 00000000A1CC: DD348008 00089F06
	global_atomic_add_f32 v6, v163, s[8:9] offset:264          // 00000000A1D4: DD348108 0008A306
	s_mov_b64 exec, s[36:37]                                   // 00000000A1DC: BEFE0124
	s_branch label_38D8                                        // 00000000A1E0: BF821ADC

000000000000a1e4 <label_1DFC>:
	s_waitcnt vmcnt(23) lgkmcnt(0)                             // 00000000A1E4: BF8C4077
	v_mul_f32_dpp v4, v24, v36 row_newbcast:0 row_mask:0xf bank_mask:0xf// 00000000A1E8: 0A0848FA FF015018
	v_mfma_f32_16x16x32_fp8_fp8 v[8:11], a[96:97], a[0:1], 0   // 00000000A1F0: D3F30008 1A020160
	buffer_load_dword v25, v22, s[32:35], 0 offen              // 00000000A1F8: E0501000 80081916
	buffer_load_dwordx4 a[128:131], v66, s[24:27], 0 offen     // 00000000A200: E05C1000 80868042
	v_mfma_f32_16x16x32_fp8_fp8 v[8:11], a[98:99], a[2:3], v[8:11]// 00000000A208: D3F30008 1C220562
	v_mfma_f32_16x16x32_fp8_fp8 v[8:11], a[100:101], a[4:5], v[8:11]// 00000000A210: D3F30008 1C220964
	v_mfma_f32_16x16x32_fp8_fp8 v[8:11], a[102:103], a[6:7], v[8:11]// 00000000A218: D3F30008 1C220D66
	v_mfma_f32_16x16x32_fp8_fp8 v[12:15], a[104:105], a[0:1], 0// 00000000A220: D3F3000C 1A020168
	buffer_load_dwordx4 a[132:135], v66, s[24:27], 0 offen offset:1024// 00000000A228: E05C1400 80868442
	v_mfma_f32_16x16x32_fp8_fp8 v[12:15], a[106:107], a[2:3], v[12:15]// 00000000A230: D3F3000C 1C32056A
	v_mfma_f32_16x16x32_fp8_fp8 v[12:15], a[108:109], a[4:5], v[12:15]// 00000000A238: D3F3000C 1C32096C
	v_mfma_f32_16x16x32_fp8_fp8 v[12:15], a[110:111], a[6:7], v[12:15]// 00000000A240: D3F3000C 1C320D6E
	v_fma_f32 v68, v8, v4, v68                                 // 00000000A248: D1CB0044 05120908
	v_fma_f32 v69, v9, v4, v69                                 // 00000000A250: D1CB0045 05160909
	v_fma_f32 v70, v10, v4, v70                                // 00000000A258: D1CB0046 051A090A
	v_fma_f32 v71, v11, v4, v71                                // 00000000A260: D1CB0047 051E090B
	v_mul_f32_dpp v6, v24, v37 row_newbcast:0 row_mask:0xf bank_mask:0xf// 00000000A268: 0A0C4AFA FF015018
	v_mfma_f32_16x16x32_fp8_fp8 v[8:11], a[96:97], a[8:9], 0   // 00000000A270: D3F30008 1A021160
	buffer_load_dwordx4 a[136:139], v67, s[24:27], 0 offen     // 00000000A278: E05C1000 80868843
	v_mfma_f32_16x16x32_fp8_fp8 v[8:11], a[98:99], a[10:11], v[8:11]// 00000000A280: D3F30008 1C221562
	v_mfma_f32_16x16x32_fp8_fp8 v[8:11], a[100:101], a[12:13], v[8:11]// 00000000A288: D3F30008 1C221964
	v_mfma_f32_16x16x32_fp8_fp8 v[8:11], a[102:103], a[14:15], v[8:11]// 00000000A290: D3F30008 1C221D66
	v_fma_f32 v92, v12, v4, v92                                // 00000000A298: D1CB005C 0572090C
	v_fma_f32 v93, v13, v4, v93                                // 00000000A2A0: D1CB005D 0576090D
	v_fma_f32 v94, v14, v4, v94                                // 00000000A2A8: D1CB005E 057A090E
	v_fma_f32 v95, v15, v4, v95                                // 00000000A2B0: D1CB005F 057E090F
	v_mfma_f32_16x16x32_fp8_fp8 v[12:15], a[104:105], a[8:9], 0// 00000000A2B8: D3F3000C 1A021168
	buffer_load_dwordx4 a[140:143], v67, s[24:27], 0 offen offset:1024// 00000000A2C0: E05C1400 80868C43
	buffer_load_dword v54, s[20:23], 0 offen lds               // 00000000A2C8: E0511000 80050036
	s_add_u32 m0, 0x100, s50                                   // 00000000A2D0: 807C32FF 00000100
	v_mfma_f32_16x16x32_fp8_fp8 v[12:15], a[106:107], a[10:11], v[12:15]// 00000000A2D8: D3F3000C 1C32156A
	v_mfma_f32_16x16x32_fp8_fp8 v[12:15], a[108:109], a[12:13], v[12:15]// 00000000A2E0: D3F3000C 1C32196C
	buffer_load_dword v55, s[20:23], 0 offen lds               // 00000000A2E8: E0511000 80050037
	s_add_u32 m0, 0x200, s50                                   // 00000000A2F0: 807C32FF 00000200
	v_mfma_f32_16x16x32_fp8_fp8 v[12:15], a[110:111], a[14:15], v[12:15]// 00000000A2F8: D3F3000C 1C321D6E
	v_fma_f32 v72, v8, v6, v72                                 // 00000000A300: D1CB0048 05220D08
	v_fma_f32 v73, v9, v6, v73                                 // 00000000A308: D1CB0049 05260D09
	v_fma_f32 v74, v10, v6, v74                                // 00000000A310: D1CB004A 052A0D0A
	v_fma_f32 v75, v11, v6, v75                                // 00000000A318: D1CB004B 052E0D0B
	v_mul_f32_dpp v4, v24, v38 row_newbcast:0 row_mask:0xf bank_mask:0xf// 00000000A320: 0A084CFA FF015018
	v_mfma_f32_16x16x32_fp8_fp8 v[8:11], a[96:97], a[16:17], 0 // 00000000A328: D3F30008 1A022160
	buffer_load_dword v56, s[20:23], 0 offen lds               // 00000000A330: E0511000 80050038
	s_add_u32 m0, 0x300, s50                                   // 00000000A338: 807C32FF 00000300
	v_mfma_f32_16x16x32_fp8_fp8 v[8:11], a[98:99], a[18:19], v[8:11]// 00000000A340: D3F30008 1C222562
	v_mfma_f32_16x16x32_fp8_fp8 v[8:11], a[100:101], a[20:21], v[8:11]// 00000000A348: D3F30008 1C222964
	buffer_load_dword v57, s[20:23], 0 offen lds               // 00000000A350: E0511000 80050039
	s_add_u32 m0, 0x400, s50                                   // 00000000A358: 807C32FF 00000400
	v_mfma_f32_16x16x32_fp8_fp8 v[8:11], a[102:103], a[22:23], v[8:11]// 00000000A360: D3F30008 1C222D66
	v_fma_f32 v96, v12, v6, v96                                // 00000000A368: D1CB0060 05820D0C
	v_fma_f32 v97, v13, v6, v97                                // 00000000A370: D1CB0061 05860D0D
	v_fma_f32 v98, v14, v6, v98                                // 00000000A378: D1CB0062 058A0D0E
	v_fma_f32 v99, v15, v6, v99                                // 00000000A380: D1CB0063 058E0D0F
	v_mfma_f32_16x16x32_fp8_fp8 v[12:15], a[104:105], a[16:17], 0// 00000000A388: D3F3000C 1A022168
	buffer_load_dword v58, s[20:23], 0 offen lds               // 00000000A390: E0511000 8005003A
	s_add_u32 m0, 0x500, s50                                   // 00000000A398: 807C32FF 00000500
	v_mfma_f32_16x16x32_fp8_fp8 v[12:15], a[106:107], a[18:19], v[12:15]// 00000000A3A0: D3F3000C 1C32256A
	v_mfma_f32_16x16x32_fp8_fp8 v[12:15], a[108:109], a[20:21], v[12:15]// 00000000A3A8: D3F3000C 1C32296C
	buffer_load_dword v59, s[20:23], 0 offen lds               // 00000000A3B0: E0511000 8005003B
	s_add_u32 m0, 0x600, s50                                   // 00000000A3B8: 807C32FF 00000600
	v_mfma_f32_16x16x32_fp8_fp8 v[12:15], a[110:111], a[22:23], v[12:15]// 00000000A3C0: D3F3000C 1C322D6E
	v_fma_f32 v76, v8, v4, v76                                 // 00000000A3C8: D1CB004C 05320908
	v_fma_f32 v77, v9, v4, v77                                 // 00000000A3D0: D1CB004D 05360909
	v_fma_f32 v78, v10, v4, v78                                // 00000000A3D8: D1CB004E 053A090A
	v_fma_f32 v79, v11, v4, v79                                // 00000000A3E0: D1CB004F 053E090B
	v_mul_f32_dpp v6, v24, v39 row_newbcast:0 row_mask:0xf bank_mask:0xf// 00000000A3E8: 0A0C4EFA FF015018
	v_mfma_f32_16x16x32_fp8_fp8 v[8:11], a[96:97], a[24:25], 0 // 00000000A3F0: D3F30008 1A023160
	buffer_load_dword v60, s[20:23], 0 offen lds               // 00000000A3F8: E0511000 8005003C
	s_add_u32 m0, 0x700, s50                                   // 00000000A400: 807C32FF 00000700
	v_mfma_f32_16x16x32_fp8_fp8 v[8:11], a[98:99], a[26:27], v[8:11]// 00000000A408: D3F30008 1C223562
	v_mfma_f32_16x16x32_fp8_fp8 v[8:11], a[100:101], a[28:29], v[8:11]// 00000000A410: D3F30008 1C223964
	buffer_load_dword v61, s[20:23], 0 offen lds               // 00000000A418: E0511000 8005003D
	s_add_u32 m0, 0x800, s50                                   // 00000000A420: 807C32FF 00000800
	v_mfma_f32_16x16x32_fp8_fp8 v[8:11], a[102:103], a[30:31], v[8:11]// 00000000A428: D3F30008 1C223D66
	v_fma_f32 v100, v12, v4, v100                              // 00000000A430: D1CB0064 0592090C
	v_fma_f32 v101, v13, v4, v101                              // 00000000A438: D1CB0065 0596090D
	v_fma_f32 v102, v14, v4, v102                              // 00000000A440: D1CB0066 059A090E
	v_fma_f32 v103, v15, v4, v103                              // 00000000A448: D1CB0067 059E090F
	v_mfma_f32_16x16x32_fp8_fp8 v[12:15], a[104:105], a[24:25], 0// 00000000A450: D3F3000C 1A023168
	buffer_load_dword v62, s[20:23], 0 offen lds               // 00000000A458: E0511000 8005003E
	s_add_u32 m0, 0x900, s50                                   // 00000000A460: 807C32FF 00000900
	v_mfma_f32_16x16x32_fp8_fp8 v[12:15], a[106:107], a[26:27], v[12:15]// 00000000A468: D3F3000C 1C32356A
	v_mfma_f32_16x16x32_fp8_fp8 v[12:15], a[108:109], a[28:29], v[12:15]// 00000000A470: D3F3000C 1C32396C
	buffer_load_dword v63, s[20:23], 0 offen lds               // 00000000A478: E0511000 8005003F
	s_add_u32 m0, 0xa00, s50                                   // 00000000A480: 807C32FF 00000A00
	v_mfma_f32_16x16x32_fp8_fp8 v[12:15], a[110:111], a[30:31], v[12:15]// 00000000A488: D3F3000C 1C323D6E
	v_fma_f32 v80, v8, v6, v80                                 // 00000000A490: D1CB0050 05420D08
	v_fma_f32 v81, v9, v6, v81                                 // 00000000A498: D1CB0051 05460D09
	v_fma_f32 v82, v10, v6, v82                                // 00000000A4A0: D1CB0052 054A0D0A
	v_fma_f32 v83, v11, v6, v83                                // 00000000A4A8: D1CB0053 054E0D0B
	v_mul_f32_dpp v4, v24, v40 row_newbcast:0 row_mask:0xf bank_mask:0xf// 00000000A4B0: 0A0850FA FF015018
	v_mfma_f32_16x16x32_fp8_fp8 v[8:11], a[96:97], a[32:33], 0 // 00000000A4B8: D3F30008 1A024160
	buffer_load_dword v64, s[20:23], 0 offen lds               // 00000000A4C0: E0511000 80050040
	s_add_u32 m0, 0xb00, s50                                   // 00000000A4C8: 807C32FF 00000B00
	v_mfma_f32_16x16x32_fp8_fp8 v[8:11], a[98:99], a[34:35], v[8:11]// 00000000A4D0: D3F30008 1C224562
	v_mfma_f32_16x16x32_fp8_fp8 v[8:11], a[100:101], a[36:37], v[8:11]// 00000000A4D8: D3F30008 1C224964
	buffer_load_dword v65, s[20:23], 0 offen lds               // 00000000A4E0: E0511000 80050041
	s_add_u32 m0, 0, s48                                       // 00000000A4E8: 807C3080
	v_mfma_f32_16x16x32_fp8_fp8 v[8:11], a[102:103], a[38:39], v[8:11]// 00000000A4EC: D3F30008 1C224D66
	v_fma_f32 v104, v12, v6, v104                              // 00000000A4F4: D1CB0068 05A20D0C
	v_fma_f32 v105, v13, v6, v105                              // 00000000A4FC: D1CB0069 05A60D0D
	v_fma_f32 v106, v14, v6, v106                              // 00000000A504: D1CB006A 05AA0D0E
	v_fma_f32 v107, v15, v6, v107                              // 00000000A50C: D1CB006B 05AE0D0F
	v_mfma_f32_16x16x32_fp8_fp8 v[12:15], a[104:105], a[32:33], 0// 00000000A514: D3F3000C 1A024168
	buffer_load_dword v48, v30, s[28:31], 0 offen              // 00000000A51C: E0501000 8007301E
	v_mfma_f32_16x16x32_fp8_fp8 v[12:15], a[106:107], a[34:35], v[12:15]// 00000000A524: D3F3000C 1C32456A
	v_mfma_f32_16x16x32_fp8_fp8 v[12:15], a[108:109], a[36:37], v[12:15]// 00000000A52C: D3F3000C 1C32496C
	buffer_load_dword v49, v31, s[28:31], 0 offen              // 00000000A534: E0501000 8007311F
	v_mfma_f32_16x16x32_fp8_fp8 v[12:15], a[110:111], a[38:39], v[12:15]// 00000000A53C: D3F3000C 1C324D6E
	v_fma_f32 v84, v8, v4, v84                                 // 00000000A544: D1CB0054 05520908
	v_fma_f32 v85, v9, v4, v85                                 // 00000000A54C: D1CB0055 05560909
	v_fma_f32 v86, v10, v4, v86                                // 00000000A554: D1CB0056 055A090A
	v_fma_f32 v87, v11, v4, v87                                // 00000000A55C: D1CB0057 055E090B
	v_mul_f32_dpp v6, v24, v41 row_newbcast:0 row_mask:0xf bank_mask:0xf// 00000000A564: 0A0C52FA FF015018
	v_mfma_f32_16x16x32_fp8_fp8 v[8:11], a[96:97], a[40:41], 0 // 00000000A56C: D3F30008 1A025160
	buffer_load_dword v50, v32, s[28:31], 0 offen              // 00000000A574: E0501000 80073220
	v_mfma_f32_16x16x32_fp8_fp8 v[8:11], a[98:99], a[42:43], v[8:11]// 00000000A57C: D3F30008 1C225562
	v_mfma_f32_16x16x32_fp8_fp8 v[8:11], a[100:101], a[44:45], v[8:11]// 00000000A584: D3F30008 1C225964
	buffer_load_dword v51, v33, s[28:31], 0 offen              // 00000000A58C: E0501000 80073321
	v_mfma_f32_16x16x32_fp8_fp8 v[8:11], a[102:103], a[46:47], v[8:11]// 00000000A594: D3F30008 1C225D66
	v_fma_f32 v108, v12, v4, v108                              // 00000000A59C: D1CB006C 05B2090C
	v_fma_f32 v109, v13, v4, v109                              // 00000000A5A4: D1CB006D 05B6090D
	v_fma_f32 v110, v14, v4, v110                              // 00000000A5AC: D1CB006E 05BA090E
	v_fma_f32 v111, v15, v4, v111                              // 00000000A5B4: D1CB006F 05BE090F
	v_mfma_f32_16x16x32_fp8_fp8 v[12:15], a[104:105], a[40:41], 0// 00000000A5BC: D3F3000C 1A025168
	buffer_load_dword v52, v34, s[28:31], 0 offen              // 00000000A5C4: E0501000 80073422
	v_mfma_f32_16x16x32_fp8_fp8 v[12:15], a[106:107], a[42:43], v[12:15]// 00000000A5CC: D3F3000C 1C32556A
	v_mfma_f32_16x16x32_fp8_fp8 v[12:15], a[108:109], a[44:45], v[12:15]// 00000000A5D4: D3F3000C 1C32596C
	buffer_load_dword v53, v35, s[28:31], 0 offen              // 00000000A5DC: E0501000 80073523
	v_mfma_f32_16x16x32_fp8_fp8 v[12:15], a[110:111], a[46:47], v[12:15]// 00000000A5E4: D3F3000C 1C325D6E
	v_fma_f32 v88, v8, v6, v88                                 // 00000000A5EC: D1CB0058 05620D08
	v_fma_f32 v89, v9, v6, v89                                 // 00000000A5F4: D1CB0059 05660D09
	v_fma_f32 v90, v10, v6, v90                                // 00000000A5FC: D1CB005A 056A0D0A
	v_fma_f32 v91, v11, v6, v91                                // 00000000A604: D1CB005B 056E0D0B
	v_fma_f32 v112, v12, v6, v112                              // 00000000A60C: D1CB0070 05C20D0C
	v_fma_f32 v113, v13, v6, v113                              // 00000000A614: D1CB0071 05C60D0D
	v_fma_f32 v114, v14, v6, v114                              // 00000000A61C: D1CB0072 05CA0D0E
	v_fma_f32 v115, v15, v6, v115                              // 00000000A624: D1CB0073 05CE0D0F
	s_waitcnt vmcnt(23)                                        // 00000000A62C: BF8C4F77
	s_barrier                                                  // 00000000A630: BF8A0000
	v_mul_f32_dpp v4, v27, v36 row_newbcast:0 row_mask:0xf bank_mask:0xf// 00000000A634: 0A0848FA FF01501B
	v_mfma_f32_16x16x32_fp8_fp8 v[8:11], a[112:113], a[0:1], 0 // 00000000A63C: D3F30008 1A020170
	buffer_load_dword v28, v23, s[32:35], 0 offen              // 00000000A644: E0501000 80081C17
	buffer_load_dwordx4 a[96:99], v66, s[84:87], 0 offen       // 00000000A64C: E05C1000 80956042
	v_mfma_f32_16x16x32_fp8_fp8 v[8:11], a[114:115], a[2:3], v[8:11]// 00000000A654: D3F30008 1C220572
	v_mfma_f32_16x16x32_fp8_fp8 v[8:11], a[116:117], a[4:5], v[8:11]// 00000000A65C: D3F30008 1C220974
	ds_read_b128 a[48:51], v2 offset:12416                     // 00000000A664: DBFE3080 30000002
	ds_read_b128 a[52:55], v2 offset:12480                     // 00000000A66C: DBFE30C0 34000002
	v_mfma_f32_16x16x32_fp8_fp8 v[8:11], a[118:119], a[6:7], v[8:11]// 00000000A674: D3F30008 1C220D76
	v_mfma_f32_16x16x32_fp8_fp8 v[12:15], a[120:121], a[0:1], 0// 00000000A67C: D3F3000C 1A020178
	buffer_load_dwordx4 a[100:103], v66, s[84:87], 0 offen offset:1024// 00000000A684: E05C1400 80956442
	v_mfma_f32_16x16x32_fp8_fp8 v[12:15], a[122:123], a[2:3], v[12:15]// 00000000A68C: D3F3000C 1C32057A
	v_mfma_f32_16x16x32_fp8_fp8 v[12:15], a[124:125], a[4:5], v[12:15]// 00000000A694: D3F3000C 1C32097C
	ds_read_b128 a[56:59], v2 offset:12928                     // 00000000A69C: DBFE3280 38000002
	ds_read_b128 a[60:63], v2 offset:12992                     // 00000000A6A4: DBFE32C0 3C000002
	v_mfma_f32_16x16x32_fp8_fp8 v[12:15], a[126:127], a[6:7], v[12:15]// 00000000A6AC: D3F3000C 1C320D7E
	v_fma_f32 v116, v8, v4, v116                               // 00000000A6B4: D1CB0074 05D20908
	v_fma_f32 v117, v9, v4, v117                               // 00000000A6BC: D1CB0075 05D60909
	v_fma_f32 v118, v10, v4, v118                              // 00000000A6C4: D1CB0076 05DA090A
	v_fma_f32 v119, v11, v4, v119                              // 00000000A6CC: D1CB0077 05DE090B
	v_mul_f32_dpp v6, v27, v37 row_newbcast:0 row_mask:0xf bank_mask:0xf// 00000000A6D4: 0A0C4AFA FF01501B
	v_mfma_f32_16x16x32_fp8_fp8 v[8:11], a[112:113], a[8:9], 0 // 00000000A6DC: D3F30008 1A021170
	buffer_load_dwordx4 a[104:107], v67, s[84:87], 0 offen     // 00000000A6E4: E05C1000 80956843
	v_mfma_f32_16x16x32_fp8_fp8 v[8:11], a[114:115], a[10:11], v[8:11]// 00000000A6EC: D3F30008 1C221572
	v_mfma_f32_16x16x32_fp8_fp8 v[8:11], a[116:117], a[12:13], v[8:11]// 00000000A6F4: D3F30008 1C221974
	ds_read_b128 a[64:67], v2 offset:13440                     // 00000000A6FC: DBFE3480 40000002
	ds_read_b128 a[68:71], v2 offset:13504                     // 00000000A704: DBFE34C0 44000002
	v_mfma_f32_16x16x32_fp8_fp8 v[8:11], a[118:119], a[14:15], v[8:11]// 00000000A70C: D3F30008 1C221D76
	v_fma_f32 v140, v12, v4, v140                              // 00000000A714: D1CB008C 0632090C
	v_fma_f32 v141, v13, v4, v141                              // 00000000A71C: D1CB008D 0636090D
	v_fma_f32 v142, v14, v4, v142                              // 00000000A724: D1CB008E 063A090E
	v_fma_f32 v143, v15, v4, v143                              // 00000000A72C: D1CB008F 063E090F
	v_mfma_f32_16x16x32_fp8_fp8 v[12:15], a[120:121], a[8:9], 0// 00000000A734: D3F3000C 1A021178
	buffer_load_dwordx4 a[108:111], v67, s[84:87], 0 offen offset:1024// 00000000A73C: E05C1400 80956C43
	v_mfma_f32_16x16x32_fp8_fp8 v[12:15], a[122:123], a[10:11], v[12:15]// 00000000A744: D3F3000C 1C32157A
	v_mfma_f32_16x16x32_fp8_fp8 v[12:15], a[124:125], a[12:13], v[12:15]// 00000000A74C: D3F3000C 1C32197C
	ds_read_b128 a[72:75], v2 offset:13952                     // 00000000A754: DBFE3680 48000002
	ds_read_b128 a[76:79], v2 offset:14016                     // 00000000A75C: DBFE36C0 4C000002
	v_mfma_f32_16x16x32_fp8_fp8 v[12:15], a[126:127], a[14:15], v[12:15]// 00000000A764: D3F3000C 1C321D7E
	v_fma_f32 v120, v8, v6, v120                               // 00000000A76C: D1CB0078 05E20D08
	v_fma_f32 v121, v9, v6, v121                               // 00000000A774: D1CB0079 05E60D09
	v_fma_f32 v122, v10, v6, v122                              // 00000000A77C: D1CB007A 05EA0D0A
	v_fma_f32 v123, v11, v6, v123                              // 00000000A784: D1CB007B 05EE0D0B
	v_mul_f32_dpp v4, v27, v38 row_newbcast:0 row_mask:0xf bank_mask:0xf// 00000000A78C: 0A084CFA FF01501B
	v_mfma_f32_16x16x32_fp8_fp8 v[8:11], a[112:113], a[16:17], 0// 00000000A794: D3F30008 1A022170
	v_mfma_f32_16x16x32_fp8_fp8 v[8:11], a[114:115], a[18:19], v[8:11]// 00000000A79C: D3F30008 1C222572
	v_mfma_f32_16x16x32_fp8_fp8 v[8:11], a[116:117], a[20:21], v[8:11]// 00000000A7A4: D3F30008 1C222974
	ds_read_b128 a[80:83], v2 offset:14464                     // 00000000A7AC: DBFE3880 50000002
	ds_read_b128 a[84:87], v2 offset:14528                     // 00000000A7B4: DBFE38C0 54000002
	v_mfma_f32_16x16x32_fp8_fp8 v[8:11], a[118:119], a[22:23], v[8:11]// 00000000A7BC: D3F30008 1C222D76
	v_fma_f32 v144, v12, v6, v144                              // 00000000A7C4: D1CB0090 06420D0C
	v_fma_f32 v145, v13, v6, v145                              // 00000000A7CC: D1CB0091 06460D0D
	v_fma_f32 v146, v14, v6, v146                              // 00000000A7D4: D1CB0092 064A0D0E
	v_fma_f32 v147, v15, v6, v147                              // 00000000A7DC: D1CB0093 064E0D0F
	v_mfma_f32_16x16x32_fp8_fp8 v[12:15], a[120:121], a[16:17], 0// 00000000A7E4: D3F3000C 1A022178
	v_mfma_f32_16x16x32_fp8_fp8 v[12:15], a[122:123], a[18:19], v[12:15]// 00000000A7EC: D3F3000C 1C32257A
	v_mfma_f32_16x16x32_fp8_fp8 v[12:15], a[124:125], a[20:21], v[12:15]// 00000000A7F4: D3F3000C 1C32297C
	ds_read_b128 a[88:91], v2 offset:14976                     // 00000000A7FC: DBFE3A80 58000002
	ds_read_b128 a[92:95], v2 offset:15040                     // 00000000A804: DBFE3AC0 5C000002
	v_mfma_f32_16x16x32_fp8_fp8 v[12:15], a[126:127], a[22:23], v[12:15]// 00000000A80C: D3F3000C 1C322D7E
	v_fma_f32 v124, v8, v4, v124                               // 00000000A814: D1CB007C 05F20908
	v_fma_f32 v125, v9, v4, v125                               // 00000000A81C: D1CB007D 05F60909
	v_fma_f32 v126, v10, v4, v126                              // 00000000A824: D1CB007E 05FA090A
	v_fma_f32 v127, v11, v4, v127                              // 00000000A82C: D1CB007F 05FE090B
	v_mul_f32_dpp v6, v27, v39 row_newbcast:0 row_mask:0xf bank_mask:0xf// 00000000A834: 0A0C4EFA FF01501B
	v_mfma_f32_16x16x32_fp8_fp8 v[8:11], a[112:113], a[24:25], 0// 00000000A83C: D3F30008 1A023170
	v_mfma_f32_16x16x32_fp8_fp8 v[8:11], a[114:115], a[26:27], v[8:11]// 00000000A844: D3F30008 1C223572
	v_mfma_f32_16x16x32_fp8_fp8 v[8:11], a[116:117], a[28:29], v[8:11]// 00000000A84C: D3F30008 1C223974
	v_mfma_f32_16x16x32_fp8_fp8 v[8:11], a[118:119], a[30:31], v[8:11]// 00000000A854: D3F30008 1C223D76
	v_fma_f32 v148, v12, v4, v148                              // 00000000A85C: D1CB0094 0652090C
	v_fma_f32 v149, v13, v4, v149                              // 00000000A864: D1CB0095 0656090D
	v_fma_f32 v150, v14, v4, v150                              // 00000000A86C: D1CB0096 065A090E
	v_fma_f32 v151, v15, v4, v151                              // 00000000A874: D1CB0097 065E090F
	v_mfma_f32_16x16x32_fp8_fp8 v[12:15], a[120:121], a[24:25], 0// 00000000A87C: D3F3000C 1A023178
	v_mfma_f32_16x16x32_fp8_fp8 v[12:15], a[122:123], a[26:27], v[12:15]// 00000000A884: D3F3000C 1C32357A
	v_mfma_f32_16x16x32_fp8_fp8 v[12:15], a[124:125], a[28:29], v[12:15]// 00000000A88C: D3F3000C 1C32397C
	v_mfma_f32_16x16x32_fp8_fp8 v[12:15], a[126:127], a[30:31], v[12:15]// 00000000A894: D3F3000C 1C323D7E
	v_fma_f32 v128, v8, v6, v128                               // 00000000A89C: D1CB0080 06020D08
	v_fma_f32 v129, v9, v6, v129                               // 00000000A8A4: D1CB0081 06060D09
	v_fma_f32 v130, v10, v6, v130                              // 00000000A8AC: D1CB0082 060A0D0A
	v_fma_f32 v131, v11, v6, v131                              // 00000000A8B4: D1CB0083 060E0D0B
	v_mul_f32_dpp v4, v27, v40 row_newbcast:0 row_mask:0xf bank_mask:0xf// 00000000A8BC: 0A0850FA FF01501B
	v_mfma_f32_16x16x32_fp8_fp8 v[8:11], a[112:113], a[32:33], 0// 00000000A8C4: D3F30008 1A024170
	v_mfma_f32_16x16x32_fp8_fp8 v[8:11], a[114:115], a[34:35], v[8:11]// 00000000A8CC: D3F30008 1C224572
	v_mfma_f32_16x16x32_fp8_fp8 v[8:11], a[116:117], a[36:37], v[8:11]// 00000000A8D4: D3F30008 1C224974
	v_mfma_f32_16x16x32_fp8_fp8 v[8:11], a[118:119], a[38:39], v[8:11]// 00000000A8DC: D3F30008 1C224D76
	v_fma_f32 v152, v12, v6, v152                              // 00000000A8E4: D1CB0098 06620D0C
	v_fma_f32 v153, v13, v6, v153                              // 00000000A8EC: D1CB0099 06660D0D
	v_fma_f32 v154, v14, v6, v154                              // 00000000A8F4: D1CB009A 066A0D0E
	v_fma_f32 v155, v15, v6, v155                              // 00000000A8FC: D1CB009B 066E0D0F
	v_mfma_f32_16x16x32_fp8_fp8 v[12:15], a[120:121], a[32:33], 0// 00000000A904: D3F3000C 1A024178
	v_mfma_f32_16x16x32_fp8_fp8 v[12:15], a[122:123], a[34:35], v[12:15]// 00000000A90C: D3F3000C 1C32457A
	v_mfma_f32_16x16x32_fp8_fp8 v[12:15], a[124:125], a[36:37], v[12:15]// 00000000A914: D3F3000C 1C32497C
	v_mfma_f32_16x16x32_fp8_fp8 v[12:15], a[126:127], a[38:39], v[12:15]// 00000000A91C: D3F3000C 1C324D7E
	v_fma_f32 v132, v8, v4, v132                               // 00000000A924: D1CB0084 06120908
	v_fma_f32 v133, v9, v4, v133                               // 00000000A92C: D1CB0085 06160909
	v_fma_f32 v134, v10, v4, v134                              // 00000000A934: D1CB0086 061A090A
	v_fma_f32 v135, v11, v4, v135                              // 00000000A93C: D1CB0087 061E090B
	v_mul_f32_dpp v6, v27, v41 row_newbcast:0 row_mask:0xf bank_mask:0xf// 00000000A944: 0A0C52FA FF01501B
	v_mfma_f32_16x16x32_fp8_fp8 v[8:11], a[112:113], a[40:41], 0// 00000000A94C: D3F30008 1A025170
	s_add_u32 s60, 0x180, s80                                  // 00000000A954: 803C50FF 00000180
	s_cmp_lt_u32 s60, s81                                      // 00000000A95C: BF0A513C
	s_cselect_b32 s57, s57, 0                                  // 00000000A960: 85398039
	s_cselect_b32 s3, s3, 0                                    // 00000000A964: 85038003
	v_mfma_f32_16x16x32_fp8_fp8 v[8:11], a[114:115], a[42:43], v[8:11]// 00000000A968: D3F30008 1C225572
	s_add_u32 s60, 0x100, s80                                  // 00000000A970: 803C50FF 00000100
	s_cmp_lt_u32 s60, s81                                      // 00000000A978: BF0A513C
	s_cselect_b32 s58, s58, 0                                  // 00000000A97C: 853A803A
	v_mfma_f32_16x16x32_fp8_fp8 v[8:11], a[116:117], a[44:45], v[8:11]// 00000000A980: D3F30008 1C225974
	s_add_u32 s60, 0x100, s80                                  // 00000000A988: 803C50FF 00000100
	s_cmp_lt_u32 s60, s81                                      // 00000000A990: BF0A513C
	s_cselect_b32 s83, s83, 0                                  // 00000000A994: 85538053
	s_cselect_b32 s4, s4, 0                                    // 00000000A998: 85048004
	v_mfma_f32_16x16x32_fp8_fp8 v[8:11], a[118:119], a[46:47], v[8:11]// 00000000A99C: D3F30008 1C225D76
	s_add_u32 s24, s58, s24                                    // 00000000A9A4: 8018183A
	s_addc_u32 s25, 0, s25                                     // 00000000A9A8: 82191980
	v_fma_f32 v156, v12, v4, v156                              // 00000000A9AC: D1CB009C 0672090C
	v_fma_f32 v157, v13, v4, v157                              // 00000000A9B4: D1CB009D 0676090D
	v_fma_f32 v158, v14, v4, v158                              // 00000000A9BC: D1CB009E 067A090E
	v_fma_f32 v159, v15, v4, v159                              // 00000000A9C4: D1CB009F 067E090F
	v_mfma_f32_16x16x32_fp8_fp8 v[12:15], a[120:121], a[40:41], 0// 00000000A9CC: D3F3000C 1A025178
	s_add_u32 s20, s57, s20                                    // 00000000A9D4: 80141439
	s_addc_u32 s21, 0, s21                                     // 00000000A9D8: 82151580
	s_add_u32 s28, s3, s28                                     // 00000000A9DC: 801C1C03
	s_addc_u32 s29, 0, s29                                     // 00000000A9E0: 821D1D80
	v_mfma_f32_16x16x32_fp8_fp8 v[12:15], a[122:123], a[42:43], v[12:15]// 00000000A9E4: D3F3000C 1C32557A
	s_add_u32 s84, s83, s84                                    // 00000000A9EC: 80545453
	s_addc_u32 s85, 0, s85                                     // 00000000A9F0: 82555580
	v_mfma_f32_16x16x32_fp8_fp8 v[12:15], a[124:125], a[44:45], v[12:15]// 00000000A9F4: D3F3000C 1C32597C
	s_add_u32 s32, s4, s32                                     // 00000000A9FC: 80202004
	s_addc_u32 s33, 0, s33                                     // 00000000AA00: 82212180
	v_mfma_f32_16x16x32_fp8_fp8 v[12:15], a[126:127], a[46:47], v[12:15]// 00000000AA04: D3F3000C 1C325D7E
	v_fma_f32 v136, v8, v6, v136                               // 00000000AA0C: D1CB0088 06220D08
	v_fma_f32 v137, v9, v6, v137                               // 00000000AA14: D1CB0089 06260D09
	v_fma_f32 v138, v10, v6, v138                              // 00000000AA1C: D1CB008A 062A0D0A
	v_fma_f32 v139, v11, v6, v139                              // 00000000AA24: D1CB008B 062E0D0B
	v_fma_f32 v160, v12, v6, v160                              // 00000000AA2C: D1CB00A0 06820D0C
	v_fma_f32 v161, v13, v6, v161                              // 00000000AA34: D1CB00A1 06860D0D
	v_fma_f32 v162, v14, v6, v162                              // 00000000AA3C: D1CB00A2 068A0D0E
	v_fma_f32 v163, v15, v6, v163                              // 00000000AA44: D1CB00A3 068E0D0F
	s_addk_i32 s80, 0x80                                       // 00000000AA4C: B7500080
	s_cmp_lt_i32 s80, s81                                      // 00000000AA50: BF045150
	s_cbranch_scc0 label_2AAB                                  // 00000000AA54: BF840A92
	s_waitcnt vmcnt(23) lgkmcnt(0)                             // 00000000AA58: BF8C4077
	v_mul_f32_dpp v4, v25, v42 row_newbcast:0 row_mask:0xf bank_mask:0xf// 00000000AA5C: 0A0854FA FF015019
	v_mfma_f32_16x16x32_fp8_fp8 v[8:11], a[128:129], a[48:49], 0// 00000000AA64: D3F30008 1A026180
	buffer_load_dword v26, v22, s[32:35], 0 offen              // 00000000AA6C: E0501000 80081A16
	buffer_load_dwordx4 a[112:115], v66, s[24:27], 0 offen     // 00000000AA74: E05C1000 80867042
	v_mfma_f32_16x16x32_fp8_fp8 v[8:11], a[130:131], a[50:51], v[8:11]// 00000000AA7C: D3F30008 1C226582
	v_mfma_f32_16x16x32_fp8_fp8 v[8:11], a[132:133], a[52:53], v[8:11]// 00000000AA84: D3F30008 1C226984
	v_mfma_f32_16x16x32_fp8_fp8 v[8:11], a[134:135], a[54:55], v[8:11]// 00000000AA8C: D3F30008 1C226D86
	v_mfma_f32_16x16x32_fp8_fp8 v[12:15], a[136:137], a[48:49], 0// 00000000AA94: D3F3000C 1A026188
	buffer_load_dwordx4 a[116:119], v66, s[24:27], 0 offen offset:1024// 00000000AA9C: E05C1400 80867442
	v_mfma_f32_16x16x32_fp8_fp8 v[12:15], a[138:139], a[50:51], v[12:15]// 00000000AAA4: D3F3000C 1C32658A
	v_mfma_f32_16x16x32_fp8_fp8 v[12:15], a[140:141], a[52:53], v[12:15]// 00000000AAAC: D3F3000C 1C32698C
	v_mfma_f32_16x16x32_fp8_fp8 v[12:15], a[142:143], a[54:55], v[12:15]// 00000000AAB4: D3F3000C 1C326D8E
	v_fma_f32 v68, v8, v4, v68                                 // 00000000AABC: D1CB0044 05120908
	v_fma_f32 v69, v9, v4, v69                                 // 00000000AAC4: D1CB0045 05160909
	v_fma_f32 v70, v10, v4, v70                                // 00000000AACC: D1CB0046 051A090A
	v_fma_f32 v71, v11, v4, v71                                // 00000000AAD4: D1CB0047 051E090B
	v_mul_f32_dpp v6, v25, v43 row_newbcast:0 row_mask:0xf bank_mask:0xf// 00000000AADC: 0A0C56FA FF015019
	v_mfma_f32_16x16x32_fp8_fp8 v[8:11], a[128:129], a[56:57], 0// 00000000AAE4: D3F30008 1A027180
	buffer_load_dwordx4 a[120:123], v67, s[24:27], 0 offen     // 00000000AAEC: E05C1000 80867843
	v_mfma_f32_16x16x32_fp8_fp8 v[8:11], a[130:131], a[58:59], v[8:11]// 00000000AAF4: D3F30008 1C227582
	v_mfma_f32_16x16x32_fp8_fp8 v[8:11], a[132:133], a[60:61], v[8:11]// 00000000AAFC: D3F30008 1C227984
	v_mfma_f32_16x16x32_fp8_fp8 v[8:11], a[134:135], a[62:63], v[8:11]// 00000000AB04: D3F30008 1C227D86
	v_fma_f32 v92, v12, v4, v92                                // 00000000AB0C: D1CB005C 0572090C
	v_fma_f32 v93, v13, v4, v93                                // 00000000AB14: D1CB005D 0576090D
	v_fma_f32 v94, v14, v4, v94                                // 00000000AB1C: D1CB005E 057A090E
	v_fma_f32 v95, v15, v4, v95                                // 00000000AB24: D1CB005F 057E090F
	v_mfma_f32_16x16x32_fp8_fp8 v[12:15], a[136:137], a[56:57], 0// 00000000AB2C: D3F3000C 1A027188
	buffer_load_dwordx4 a[124:127], v67, s[24:27], 0 offen offset:1024// 00000000AB34: E05C1400 80867C43
	buffer_load_dword v54, s[20:23], 0 offen lds               // 00000000AB3C: E0511000 80050036
	s_add_u32 m0, 0x100, s48                                   // 00000000AB44: 807C30FF 00000100
	v_mfma_f32_16x16x32_fp8_fp8 v[12:15], a[138:139], a[58:59], v[12:15]// 00000000AB4C: D3F3000C 1C32758A
	v_mfma_f32_16x16x32_fp8_fp8 v[12:15], a[140:141], a[60:61], v[12:15]// 00000000AB54: D3F3000C 1C32798C
	buffer_load_dword v55, s[20:23], 0 offen lds               // 00000000AB5C: E0511000 80050037
	s_add_u32 m0, 0x200, s48                                   // 00000000AB64: 807C30FF 00000200
	v_mfma_f32_16x16x32_fp8_fp8 v[12:15], a[142:143], a[62:63], v[12:15]// 00000000AB6C: D3F3000C 1C327D8E
	v_fma_f32 v72, v8, v6, v72                                 // 00000000AB74: D1CB0048 05220D08
	v_fma_f32 v73, v9, v6, v73                                 // 00000000AB7C: D1CB0049 05260D09
	v_fma_f32 v74, v10, v6, v74                                // 00000000AB84: D1CB004A 052A0D0A
	v_fma_f32 v75, v11, v6, v75                                // 00000000AB8C: D1CB004B 052E0D0B
	v_mul_f32_dpp v4, v25, v44 row_newbcast:0 row_mask:0xf bank_mask:0xf// 00000000AB94: 0A0858FA FF015019
	v_mfma_f32_16x16x32_fp8_fp8 v[8:11], a[128:129], a[64:65], 0// 00000000AB9C: D3F30008 1A028180
	buffer_load_dword v56, s[20:23], 0 offen lds               // 00000000ABA4: E0511000 80050038
	s_add_u32 m0, 0x300, s48                                   // 00000000ABAC: 807C30FF 00000300
	v_mfma_f32_16x16x32_fp8_fp8 v[8:11], a[130:131], a[66:67], v[8:11]// 00000000ABB4: D3F30008 1C228582
	v_mfma_f32_16x16x32_fp8_fp8 v[8:11], a[132:133], a[68:69], v[8:11]// 00000000ABBC: D3F30008 1C228984
	buffer_load_dword v57, s[20:23], 0 offen lds               // 00000000ABC4: E0511000 80050039
	s_add_u32 m0, 0x400, s48                                   // 00000000ABCC: 807C30FF 00000400
	v_mfma_f32_16x16x32_fp8_fp8 v[8:11], a[134:135], a[70:71], v[8:11]// 00000000ABD4: D3F30008 1C228D86
	v_fma_f32 v96, v12, v6, v96                                // 00000000ABDC: D1CB0060 05820D0C
	v_fma_f32 v97, v13, v6, v97                                // 00000000ABE4: D1CB0061 05860D0D
	v_fma_f32 v98, v14, v6, v98                                // 00000000ABEC: D1CB0062 058A0D0E
	v_fma_f32 v99, v15, v6, v99                                // 00000000ABF4: D1CB0063 058E0D0F
	v_mfma_f32_16x16x32_fp8_fp8 v[12:15], a[136:137], a[64:65], 0// 00000000ABFC: D3F3000C 1A028188
	buffer_load_dword v58, s[20:23], 0 offen lds               // 00000000AC04: E0511000 8005003A
	s_add_u32 m0, 0x500, s48                                   // 00000000AC0C: 807C30FF 00000500
	v_mfma_f32_16x16x32_fp8_fp8 v[12:15], a[138:139], a[66:67], v[12:15]// 00000000AC14: D3F3000C 1C32858A
	v_mfma_f32_16x16x32_fp8_fp8 v[12:15], a[140:141], a[68:69], v[12:15]// 00000000AC1C: D3F3000C 1C32898C
	buffer_load_dword v59, s[20:23], 0 offen lds               // 00000000AC24: E0511000 8005003B
	s_add_u32 m0, 0x600, s48                                   // 00000000AC2C: 807C30FF 00000600
	v_mfma_f32_16x16x32_fp8_fp8 v[12:15], a[142:143], a[70:71], v[12:15]// 00000000AC34: D3F3000C 1C328D8E
	v_fma_f32 v76, v8, v4, v76                                 // 00000000AC3C: D1CB004C 05320908
	v_fma_f32 v77, v9, v4, v77                                 // 00000000AC44: D1CB004D 05360909
	v_fma_f32 v78, v10, v4, v78                                // 00000000AC4C: D1CB004E 053A090A
	v_fma_f32 v79, v11, v4, v79                                // 00000000AC54: D1CB004F 053E090B
	v_mul_f32_dpp v6, v25, v45 row_newbcast:0 row_mask:0xf bank_mask:0xf// 00000000AC5C: 0A0C5AFA FF015019
	v_mfma_f32_16x16x32_fp8_fp8 v[8:11], a[128:129], a[72:73], 0// 00000000AC64: D3F30008 1A029180
	buffer_load_dword v60, s[20:23], 0 offen lds               // 00000000AC6C: E0511000 8005003C
	s_add_u32 m0, 0x700, s48                                   // 00000000AC74: 807C30FF 00000700
	v_mfma_f32_16x16x32_fp8_fp8 v[8:11], a[130:131], a[74:75], v[8:11]// 00000000AC7C: D3F30008 1C229582
	v_mfma_f32_16x16x32_fp8_fp8 v[8:11], a[132:133], a[76:77], v[8:11]// 00000000AC84: D3F30008 1C229984
	buffer_load_dword v61, s[20:23], 0 offen lds               // 00000000AC8C: E0511000 8005003D
	s_add_u32 m0, 0x800, s48                                   // 00000000AC94: 807C30FF 00000800
	v_mfma_f32_16x16x32_fp8_fp8 v[8:11], a[134:135], a[78:79], v[8:11]// 00000000AC9C: D3F30008 1C229D86
	v_fma_f32 v100, v12, v4, v100                              // 00000000ACA4: D1CB0064 0592090C
	v_fma_f32 v101, v13, v4, v101                              // 00000000ACAC: D1CB0065 0596090D
	v_fma_f32 v102, v14, v4, v102                              // 00000000ACB4: D1CB0066 059A090E
	v_fma_f32 v103, v15, v4, v103                              // 00000000ACBC: D1CB0067 059E090F
	v_mfma_f32_16x16x32_fp8_fp8 v[12:15], a[136:137], a[72:73], 0// 00000000ACC4: D3F3000C 1A029188
	buffer_load_dword v62, s[20:23], 0 offen lds               // 00000000ACCC: E0511000 8005003E
	s_add_u32 m0, 0x900, s48                                   // 00000000ACD4: 807C30FF 00000900
	v_mfma_f32_16x16x32_fp8_fp8 v[12:15], a[138:139], a[74:75], v[12:15]// 00000000ACDC: D3F3000C 1C32958A
	v_mfma_f32_16x16x32_fp8_fp8 v[12:15], a[140:141], a[76:77], v[12:15]// 00000000ACE4: D3F3000C 1C32998C
	buffer_load_dword v63, s[20:23], 0 offen lds               // 00000000ACEC: E0511000 8005003F
	s_add_u32 m0, 0xa00, s48                                   // 00000000ACF4: 807C30FF 00000A00
	v_mfma_f32_16x16x32_fp8_fp8 v[12:15], a[142:143], a[78:79], v[12:15]// 00000000ACFC: D3F3000C 1C329D8E
	v_fma_f32 v80, v8, v6, v80                                 // 00000000AD04: D1CB0050 05420D08
	v_fma_f32 v81, v9, v6, v81                                 // 00000000AD0C: D1CB0051 05460D09
	v_fma_f32 v82, v10, v6, v82                                // 00000000AD14: D1CB0052 054A0D0A
	v_fma_f32 v83, v11, v6, v83                                // 00000000AD1C: D1CB0053 054E0D0B
	v_mul_f32_dpp v4, v25, v46 row_newbcast:0 row_mask:0xf bank_mask:0xf// 00000000AD24: 0A085CFA FF015019
	v_mfma_f32_16x16x32_fp8_fp8 v[8:11], a[128:129], a[80:81], 0// 00000000AD2C: D3F30008 1A02A180
	buffer_load_dword v64, s[20:23], 0 offen lds               // 00000000AD34: E0511000 80050040
	s_add_u32 m0, 0xb00, s48                                   // 00000000AD3C: 807C30FF 00000B00
	v_mfma_f32_16x16x32_fp8_fp8 v[8:11], a[130:131], a[82:83], v[8:11]// 00000000AD44: D3F30008 1C22A582
	v_mfma_f32_16x16x32_fp8_fp8 v[8:11], a[132:133], a[84:85], v[8:11]// 00000000AD4C: D3F30008 1C22A984
	buffer_load_dword v65, s[20:23], 0 offen lds               // 00000000AD54: E0511000 80050041
	s_add_u32 m0, 0, s49                                       // 00000000AD5C: 807C3180
	v_mfma_f32_16x16x32_fp8_fp8 v[8:11], a[134:135], a[86:87], v[8:11]// 00000000AD60: D3F30008 1C22AD86
	v_fma_f32 v104, v12, v6, v104                              // 00000000AD68: D1CB0068 05A20D0C
	v_fma_f32 v105, v13, v6, v105                              // 00000000AD70: D1CB0069 05A60D0D
	v_fma_f32 v106, v14, v6, v106                              // 00000000AD78: D1CB006A 05AA0D0E
	v_fma_f32 v107, v15, v6, v107                              // 00000000AD80: D1CB006B 05AE0D0F
	v_mfma_f32_16x16x32_fp8_fp8 v[12:15], a[136:137], a[80:81], 0// 00000000AD88: D3F3000C 1A02A188
	buffer_load_dword v36, v30, s[28:31], 0 offen              // 00000000AD90: E0501000 8007241E
	v_mfma_f32_16x16x32_fp8_fp8 v[12:15], a[138:139], a[82:83], v[12:15]// 00000000AD98: D3F3000C 1C32A58A
	v_mfma_f32_16x16x32_fp8_fp8 v[12:15], a[140:141], a[84:85], v[12:15]// 00000000ADA0: D3F3000C 1C32A98C
	buffer_load_dword v37, v31, s[28:31], 0 offen              // 00000000ADA8: E0501000 8007251F
	v_mfma_f32_16x16x32_fp8_fp8 v[12:15], a[142:143], a[86:87], v[12:15]// 00000000ADB0: D3F3000C 1C32AD8E
	v_fma_f32 v84, v8, v4, v84                                 // 00000000ADB8: D1CB0054 05520908
	v_fma_f32 v85, v9, v4, v85                                 // 00000000ADC0: D1CB0055 05560909
	v_fma_f32 v86, v10, v4, v86                                // 00000000ADC8: D1CB0056 055A090A
	v_fma_f32 v87, v11, v4, v87                                // 00000000ADD0: D1CB0057 055E090B
	v_mul_f32_dpp v6, v25, v47 row_newbcast:0 row_mask:0xf bank_mask:0xf// 00000000ADD8: 0A0C5EFA FF015019
	v_mfma_f32_16x16x32_fp8_fp8 v[8:11], a[128:129], a[88:89], 0// 00000000ADE0: D3F30008 1A02B180
	buffer_load_dword v38, v32, s[28:31], 0 offen              // 00000000ADE8: E0501000 80072620
	v_mfma_f32_16x16x32_fp8_fp8 v[8:11], a[130:131], a[90:91], v[8:11]// 00000000ADF0: D3F30008 1C22B582
	v_mfma_f32_16x16x32_fp8_fp8 v[8:11], a[132:133], a[92:93], v[8:11]// 00000000ADF8: D3F30008 1C22B984
	buffer_load_dword v39, v33, s[28:31], 0 offen              // 00000000AE00: E0501000 80072721
	v_mfma_f32_16x16x32_fp8_fp8 v[8:11], a[134:135], a[94:95], v[8:11]// 00000000AE08: D3F30008 1C22BD86
	v_fma_f32 v108, v12, v4, v108                              // 00000000AE10: D1CB006C 05B2090C
	v_fma_f32 v109, v13, v4, v109                              // 00000000AE18: D1CB006D 05B6090D
	v_fma_f32 v110, v14, v4, v110                              // 00000000AE20: D1CB006E 05BA090E
	v_fma_f32 v111, v15, v4, v111                              // 00000000AE28: D1CB006F 05BE090F
	v_mfma_f32_16x16x32_fp8_fp8 v[12:15], a[136:137], a[88:89], 0// 00000000AE30: D3F3000C 1A02B188
	buffer_load_dword v40, v34, s[28:31], 0 offen              // 00000000AE38: E0501000 80072822
	v_mfma_f32_16x16x32_fp8_fp8 v[12:15], a[138:139], a[90:91], v[12:15]// 00000000AE40: D3F3000C 1C32B58A
	v_mfma_f32_16x16x32_fp8_fp8 v[12:15], a[140:141], a[92:93], v[12:15]// 00000000AE48: D3F3000C 1C32B98C
	buffer_load_dword v41, v35, s[28:31], 0 offen              // 00000000AE50: E0501000 80072923
	v_mfma_f32_16x16x32_fp8_fp8 v[12:15], a[142:143], a[94:95], v[12:15]// 00000000AE58: D3F3000C 1C32BD8E
	v_fma_f32 v88, v8, v6, v88                                 // 00000000AE60: D1CB0058 05620D08
	v_fma_f32 v89, v9, v6, v89                                 // 00000000AE68: D1CB0059 05660D09
	v_fma_f32 v90, v10, v6, v90                                // 00000000AE70: D1CB005A 056A0D0A
	v_fma_f32 v91, v11, v6, v91                                // 00000000AE78: D1CB005B 056E0D0B
	v_fma_f32 v112, v12, v6, v112                              // 00000000AE80: D1CB0070 05C20D0C
	v_fma_f32 v113, v13, v6, v113                              // 00000000AE88: D1CB0071 05C60D0D
	v_fma_f32 v114, v14, v6, v114                              // 00000000AE90: D1CB0072 05CA0D0E
	v_fma_f32 v115, v15, v6, v115                              // 00000000AE98: D1CB0073 05CE0D0F
	s_waitcnt vmcnt(23)                                        // 00000000AEA0: BF8C4F77
	s_barrier                                                  // 00000000AEA4: BF8A0000
	v_mul_f32_dpp v4, v28, v42 row_newbcast:0 row_mask:0xf bank_mask:0xf// 00000000AEA8: 0A0854FA FF01501C
	v_mfma_f32_16x16x32_fp8_fp8 v[8:11], a[96:97], a[48:49], 0 // 00000000AEB0: D3F30008 1A026160
	buffer_load_dword v29, v23, s[32:35], 0 offen              // 00000000AEB8: E0501000 80081D17
	buffer_load_dwordx4 a[128:131], v66, s[84:87], 0 offen     // 00000000AEC0: E05C1000 80958042
	v_mfma_f32_16x16x32_fp8_fp8 v[8:11], a[98:99], a[50:51], v[8:11]// 00000000AEC8: D3F30008 1C226562
	v_mfma_f32_16x16x32_fp8_fp8 v[8:11], a[100:101], a[52:53], v[8:11]// 00000000AED0: D3F30008 1C226964
	ds_read_b128 a[0:3], v2 offset:24832                       // 00000000AED8: DBFE6100 00000002
	ds_read_b128 a[4:7], v2 offset:24896                       // 00000000AEE0: DBFE6140 04000002
	v_mfma_f32_16x16x32_fp8_fp8 v[8:11], a[102:103], a[54:55], v[8:11]// 00000000AEE8: D3F30008 1C226D66
	v_mfma_f32_16x16x32_fp8_fp8 v[12:15], a[104:105], a[48:49], 0// 00000000AEF0: D3F3000C 1A026168
	buffer_load_dwordx4 a[132:135], v66, s[84:87], 0 offen offset:1024// 00000000AEF8: E05C1400 80958442
	v_mfma_f32_16x16x32_fp8_fp8 v[12:15], a[106:107], a[50:51], v[12:15]// 00000000AF00: D3F3000C 1C32656A
	v_mfma_f32_16x16x32_fp8_fp8 v[12:15], a[108:109], a[52:53], v[12:15]// 00000000AF08: D3F3000C 1C32696C
	ds_read_b128 a[8:11], v2 offset:25344                      // 00000000AF10: DBFE6300 08000002
	ds_read_b128 a[12:15], v2 offset:25408                     // 00000000AF18: DBFE6340 0C000002
	v_mfma_f32_16x16x32_fp8_fp8 v[12:15], a[110:111], a[54:55], v[12:15]// 00000000AF20: D3F3000C 1C326D6E
	v_fma_f32 v116, v8, v4, v116                               // 00000000AF28: D1CB0074 05D20908
	v_fma_f32 v117, v9, v4, v117                               // 00000000AF30: D1CB0075 05D60909
	v_fma_f32 v118, v10, v4, v118                              // 00000000AF38: D1CB0076 05DA090A
	v_fma_f32 v119, v11, v4, v119                              // 00000000AF40: D1CB0077 05DE090B
	v_mul_f32_dpp v6, v28, v43 row_newbcast:0 row_mask:0xf bank_mask:0xf// 00000000AF48: 0A0C56FA FF01501C
	v_mfma_f32_16x16x32_fp8_fp8 v[8:11], a[96:97], a[56:57], 0 // 00000000AF50: D3F30008 1A027160
	buffer_load_dwordx4 a[136:139], v67, s[84:87], 0 offen     // 00000000AF58: E05C1000 80958843
	v_mfma_f32_16x16x32_fp8_fp8 v[8:11], a[98:99], a[58:59], v[8:11]// 00000000AF60: D3F30008 1C227562
	v_mfma_f32_16x16x32_fp8_fp8 v[8:11], a[100:101], a[60:61], v[8:11]// 00000000AF68: D3F30008 1C227964
	ds_read_b128 a[16:19], v2 offset:25856                     // 00000000AF70: DBFE6500 10000002
	ds_read_b128 a[20:23], v2 offset:25920                     // 00000000AF78: DBFE6540 14000002
	v_mfma_f32_16x16x32_fp8_fp8 v[8:11], a[102:103], a[62:63], v[8:11]// 00000000AF80: D3F30008 1C227D66
	v_fma_f32 v140, v12, v4, v140                              // 00000000AF88: D1CB008C 0632090C
	v_fma_f32 v141, v13, v4, v141                              // 00000000AF90: D1CB008D 0636090D
	v_fma_f32 v142, v14, v4, v142                              // 00000000AF98: D1CB008E 063A090E
	v_fma_f32 v143, v15, v4, v143                              // 00000000AFA0: D1CB008F 063E090F
	v_mfma_f32_16x16x32_fp8_fp8 v[12:15], a[104:105], a[56:57], 0// 00000000AFA8: D3F3000C 1A027168
	buffer_load_dwordx4 a[140:143], v67, s[84:87], 0 offen offset:1024// 00000000AFB0: E05C1400 80958C43
	v_mfma_f32_16x16x32_fp8_fp8 v[12:15], a[106:107], a[58:59], v[12:15]// 00000000AFB8: D3F3000C 1C32756A
	v_mfma_f32_16x16x32_fp8_fp8 v[12:15], a[108:109], a[60:61], v[12:15]// 00000000AFC0: D3F3000C 1C32796C
	ds_read_b128 a[24:27], v2 offset:26368                     // 00000000AFC8: DBFE6700 18000002
	ds_read_b128 a[28:31], v2 offset:26432                     // 00000000AFD0: DBFE6740 1C000002
	v_mfma_f32_16x16x32_fp8_fp8 v[12:15], a[110:111], a[62:63], v[12:15]// 00000000AFD8: D3F3000C 1C327D6E
	v_fma_f32 v120, v8, v6, v120                               // 00000000AFE0: D1CB0078 05E20D08
	v_fma_f32 v121, v9, v6, v121                               // 00000000AFE8: D1CB0079 05E60D09
	v_fma_f32 v122, v10, v6, v122                              // 00000000AFF0: D1CB007A 05EA0D0A
	v_fma_f32 v123, v11, v6, v123                              // 00000000AFF8: D1CB007B 05EE0D0B
	v_mul_f32_dpp v4, v28, v44 row_newbcast:0 row_mask:0xf bank_mask:0xf// 00000000B000: 0A0858FA FF01501C
	v_mfma_f32_16x16x32_fp8_fp8 v[8:11], a[96:97], a[64:65], 0 // 00000000B008: D3F30008 1A028160
	v_mfma_f32_16x16x32_fp8_fp8 v[8:11], a[98:99], a[66:67], v[8:11]// 00000000B010: D3F30008 1C228562
	v_mfma_f32_16x16x32_fp8_fp8 v[8:11], a[100:101], a[68:69], v[8:11]// 00000000B018: D3F30008 1C228964
	ds_read_b128 a[32:35], v2 offset:26880                     // 00000000B020: DBFE6900 20000002
	ds_read_b128 a[36:39], v2 offset:26944                     // 00000000B028: DBFE6940 24000002
	v_mfma_f32_16x16x32_fp8_fp8 v[8:11], a[102:103], a[70:71], v[8:11]// 00000000B030: D3F30008 1C228D66
	v_fma_f32 v144, v12, v6, v144                              // 00000000B038: D1CB0090 06420D0C
	v_fma_f32 v145, v13, v6, v145                              // 00000000B040: D1CB0091 06460D0D
	v_fma_f32 v146, v14, v6, v146                              // 00000000B048: D1CB0092 064A0D0E
	v_fma_f32 v147, v15, v6, v147                              // 00000000B050: D1CB0093 064E0D0F
	v_mfma_f32_16x16x32_fp8_fp8 v[12:15], a[104:105], a[64:65], 0// 00000000B058: D3F3000C 1A028168
	v_mfma_f32_16x16x32_fp8_fp8 v[12:15], a[106:107], a[66:67], v[12:15]// 00000000B060: D3F3000C 1C32856A
	v_mfma_f32_16x16x32_fp8_fp8 v[12:15], a[108:109], a[68:69], v[12:15]// 00000000B068: D3F3000C 1C32896C
	ds_read_b128 a[40:43], v2 offset:27392                     // 00000000B070: DBFE6B00 28000002
	ds_read_b128 a[44:47], v2 offset:27456                     // 00000000B078: DBFE6B40 2C000002
	v_mfma_f32_16x16x32_fp8_fp8 v[12:15], a[110:111], a[70:71], v[12:15]// 00000000B080: D3F3000C 1C328D6E
	v_fma_f32 v124, v8, v4, v124                               // 00000000B088: D1CB007C 05F20908
	v_fma_f32 v125, v9, v4, v125                               // 00000000B090: D1CB007D 05F60909
	v_fma_f32 v126, v10, v4, v126                              // 00000000B098: D1CB007E 05FA090A
	v_fma_f32 v127, v11, v4, v127                              // 00000000B0A0: D1CB007F 05FE090B
	v_mul_f32_dpp v6, v28, v45 row_newbcast:0 row_mask:0xf bank_mask:0xf// 00000000B0A8: 0A0C5AFA FF01501C
	v_mfma_f32_16x16x32_fp8_fp8 v[8:11], a[96:97], a[72:73], 0 // 00000000B0B0: D3F30008 1A029160
	v_mfma_f32_16x16x32_fp8_fp8 v[8:11], a[98:99], a[74:75], v[8:11]// 00000000B0B8: D3F30008 1C229562
	v_mfma_f32_16x16x32_fp8_fp8 v[8:11], a[100:101], a[76:77], v[8:11]// 00000000B0C0: D3F30008 1C229964
	v_mfma_f32_16x16x32_fp8_fp8 v[8:11], a[102:103], a[78:79], v[8:11]// 00000000B0C8: D3F30008 1C229D66
	v_fma_f32 v148, v12, v4, v148                              // 00000000B0D0: D1CB0094 0652090C
	v_fma_f32 v149, v13, v4, v149                              // 00000000B0D8: D1CB0095 0656090D
	v_fma_f32 v150, v14, v4, v150                              // 00000000B0E0: D1CB0096 065A090E
	v_fma_f32 v151, v15, v4, v151                              // 00000000B0E8: D1CB0097 065E090F
	v_mfma_f32_16x16x32_fp8_fp8 v[12:15], a[104:105], a[72:73], 0// 00000000B0F0: D3F3000C 1A029168
	v_mfma_f32_16x16x32_fp8_fp8 v[12:15], a[106:107], a[74:75], v[12:15]// 00000000B0F8: D3F3000C 1C32956A
	v_mfma_f32_16x16x32_fp8_fp8 v[12:15], a[108:109], a[76:77], v[12:15]// 00000000B100: D3F3000C 1C32996C
	v_mfma_f32_16x16x32_fp8_fp8 v[12:15], a[110:111], a[78:79], v[12:15]// 00000000B108: D3F3000C 1C329D6E
	v_fma_f32 v128, v8, v6, v128                               // 00000000B110: D1CB0080 06020D08
	v_fma_f32 v129, v9, v6, v129                               // 00000000B118: D1CB0081 06060D09
	v_fma_f32 v130, v10, v6, v130                              // 00000000B120: D1CB0082 060A0D0A
	v_fma_f32 v131, v11, v6, v131                              // 00000000B128: D1CB0083 060E0D0B
	v_mul_f32_dpp v4, v28, v46 row_newbcast:0 row_mask:0xf bank_mask:0xf// 00000000B130: 0A085CFA FF01501C
	v_mfma_f32_16x16x32_fp8_fp8 v[8:11], a[96:97], a[80:81], 0 // 00000000B138: D3F30008 1A02A160
	v_mfma_f32_16x16x32_fp8_fp8 v[8:11], a[98:99], a[82:83], v[8:11]// 00000000B140: D3F30008 1C22A562
	v_mfma_f32_16x16x32_fp8_fp8 v[8:11], a[100:101], a[84:85], v[8:11]// 00000000B148: D3F30008 1C22A964
	v_mfma_f32_16x16x32_fp8_fp8 v[8:11], a[102:103], a[86:87], v[8:11]// 00000000B150: D3F30008 1C22AD66
	v_fma_f32 v152, v12, v6, v152                              // 00000000B158: D1CB0098 06620D0C
	v_fma_f32 v153, v13, v6, v153                              // 00000000B160: D1CB0099 06660D0D
	v_fma_f32 v154, v14, v6, v154                              // 00000000B168: D1CB009A 066A0D0E
	v_fma_f32 v155, v15, v6, v155                              // 00000000B170: D1CB009B 066E0D0F
	v_mfma_f32_16x16x32_fp8_fp8 v[12:15], a[104:105], a[80:81], 0// 00000000B178: D3F3000C 1A02A168
	v_mfma_f32_16x16x32_fp8_fp8 v[12:15], a[106:107], a[82:83], v[12:15]// 00000000B180: D3F3000C 1C32A56A
	v_mfma_f32_16x16x32_fp8_fp8 v[12:15], a[108:109], a[84:85], v[12:15]// 00000000B188: D3F3000C 1C32A96C
	v_mfma_f32_16x16x32_fp8_fp8 v[12:15], a[110:111], a[86:87], v[12:15]// 00000000B190: D3F3000C 1C32AD6E
	v_fma_f32 v132, v8, v4, v132                               // 00000000B198: D1CB0084 06120908
	v_fma_f32 v133, v9, v4, v133                               // 00000000B1A0: D1CB0085 06160909
	v_fma_f32 v134, v10, v4, v134                              // 00000000B1A8: D1CB0086 061A090A
	v_fma_f32 v135, v11, v4, v135                              // 00000000B1B0: D1CB0087 061E090B
	v_mul_f32_dpp v6, v28, v47 row_newbcast:0 row_mask:0xf bank_mask:0xf// 00000000B1B8: 0A0C5EFA FF01501C
	v_mfma_f32_16x16x32_fp8_fp8 v[8:11], a[96:97], a[88:89], 0 // 00000000B1C0: D3F30008 1A02B160
	s_add_u32 s60, 0x180, s80                                  // 00000000B1C8: 803C50FF 00000180
	s_cmp_lt_u32 s60, s81                                      // 00000000B1D0: BF0A513C
	s_cselect_b32 s57, s57, 0                                  // 00000000B1D4: 85398039
	s_cselect_b32 s3, s3, 0                                    // 00000000B1D8: 85038003
	v_mfma_f32_16x16x32_fp8_fp8 v[8:11], a[98:99], a[90:91], v[8:11]// 00000000B1DC: D3F30008 1C22B562
	s_add_u32 s60, 0x100, s80                                  // 00000000B1E4: 803C50FF 00000100
	s_cmp_lt_u32 s60, s81                                      // 00000000B1EC: BF0A513C
	s_cselect_b32 s58, s58, 0                                  // 00000000B1F0: 853A803A
	v_mfma_f32_16x16x32_fp8_fp8 v[8:11], a[100:101], a[92:93], v[8:11]// 00000000B1F4: D3F30008 1C22B964
	s_add_u32 s60, 0x100, s80                                  // 00000000B1FC: 803C50FF 00000100
	s_cmp_lt_u32 s60, s81                                      // 00000000B204: BF0A513C
	s_cselect_b32 s83, s83, 0                                  // 00000000B208: 85538053
	s_cselect_b32 s4, s4, 0                                    // 00000000B20C: 85048004
	v_mfma_f32_16x16x32_fp8_fp8 v[8:11], a[102:103], a[94:95], v[8:11]// 00000000B210: D3F30008 1C22BD66
	s_add_u32 s24, s58, s24                                    // 00000000B218: 8018183A
	s_addc_u32 s25, 0, s25                                     // 00000000B21C: 82191980
	v_fma_f32 v156, v12, v4, v156                              // 00000000B220: D1CB009C 0672090C
	v_fma_f32 v157, v13, v4, v157                              // 00000000B228: D1CB009D 0676090D
	v_fma_f32 v158, v14, v4, v158                              // 00000000B230: D1CB009E 067A090E
	v_fma_f32 v159, v15, v4, v159                              // 00000000B238: D1CB009F 067E090F
	v_mfma_f32_16x16x32_fp8_fp8 v[12:15], a[104:105], a[88:89], 0// 00000000B240: D3F3000C 1A02B168
	s_add_u32 s20, s57, s20                                    // 00000000B248: 80141439
	s_addc_u32 s21, 0, s21                                     // 00000000B24C: 82151580
	s_add_u32 s28, s3, s28                                     // 00000000B250: 801C1C03
	s_addc_u32 s29, 0, s29                                     // 00000000B254: 821D1D80
	v_mfma_f32_16x16x32_fp8_fp8 v[12:15], a[106:107], a[90:91], v[12:15]// 00000000B258: D3F3000C 1C32B56A
	s_add_u32 s84, s83, s84                                    // 00000000B260: 80545453
	s_addc_u32 s85, 0, s85                                     // 00000000B264: 82555580
	v_mfma_f32_16x16x32_fp8_fp8 v[12:15], a[108:109], a[92:93], v[12:15]// 00000000B268: D3F3000C 1C32B96C
	s_add_u32 s32, s4, s32                                     // 00000000B270: 80202004
	s_addc_u32 s33, 0, s33                                     // 00000000B274: 82212180
	v_mfma_f32_16x16x32_fp8_fp8 v[12:15], a[110:111], a[94:95], v[12:15]// 00000000B278: D3F3000C 1C32BD6E
	v_fma_f32 v136, v8, v6, v136                               // 00000000B280: D1CB0088 06220D08
	v_fma_f32 v137, v9, v6, v137                               // 00000000B288: D1CB0089 06260D09
	v_fma_f32 v138, v10, v6, v138                              // 00000000B290: D1CB008A 062A0D0A
	v_fma_f32 v139, v11, v6, v139                              // 00000000B298: D1CB008B 062E0D0B
	v_fma_f32 v160, v12, v6, v160                              // 00000000B2A0: D1CB00A0 06820D0C
	v_fma_f32 v161, v13, v6, v161                              // 00000000B2A8: D1CB00A1 06860D0D
	v_fma_f32 v162, v14, v6, v162                              // 00000000B2B0: D1CB00A2 068A0D0E
	v_fma_f32 v163, v15, v6, v163                              // 00000000B2B8: D1CB00A3 068E0D0F
	s_addk_i32 s80, 0x80                                       // 00000000B2C0: B7500080
	s_cmp_lt_i32 s80, s81                                      // 00000000B2C4: BF045150
	s_cbranch_scc0 label_2AAB                                  // 00000000B2C8: BF840875
	s_waitcnt vmcnt(23) lgkmcnt(0)                             // 00000000B2CC: BF8C4077
	v_mul_f32_dpp v4, v26, v48 row_newbcast:0 row_mask:0xf bank_mask:0xf// 00000000B2D0: 0A0860FA FF01501A
	v_mfma_f32_16x16x32_fp8_fp8 v[8:11], a[112:113], a[0:1], 0 // 00000000B2D8: D3F30008 1A020170
	buffer_load_dword v24, v22, s[32:35], 0 offen              // 00000000B2E0: E0501000 80081816
	buffer_load_dwordx4 a[96:99], v66, s[24:27], 0 offen       // 00000000B2E8: E05C1000 80866042
	v_mfma_f32_16x16x32_fp8_fp8 v[8:11], a[114:115], a[2:3], v[8:11]// 00000000B2F0: D3F30008 1C220572
	v_mfma_f32_16x16x32_fp8_fp8 v[8:11], a[116:117], a[4:5], v[8:11]// 00000000B2F8: D3F30008 1C220974
	v_mfma_f32_16x16x32_fp8_fp8 v[8:11], a[118:119], a[6:7], v[8:11]// 00000000B300: D3F30008 1C220D76
	v_mfma_f32_16x16x32_fp8_fp8 v[12:15], a[120:121], a[0:1], 0// 00000000B308: D3F3000C 1A020178
	buffer_load_dwordx4 a[100:103], v66, s[24:27], 0 offen offset:1024// 00000000B310: E05C1400 80866442
	v_mfma_f32_16x16x32_fp8_fp8 v[12:15], a[122:123], a[2:3], v[12:15]// 00000000B318: D3F3000C 1C32057A
	v_mfma_f32_16x16x32_fp8_fp8 v[12:15], a[124:125], a[4:5], v[12:15]// 00000000B320: D3F3000C 1C32097C
	v_mfma_f32_16x16x32_fp8_fp8 v[12:15], a[126:127], a[6:7], v[12:15]// 00000000B328: D3F3000C 1C320D7E
	v_fma_f32 v68, v8, v4, v68                                 // 00000000B330: D1CB0044 05120908
	v_fma_f32 v69, v9, v4, v69                                 // 00000000B338: D1CB0045 05160909
	v_fma_f32 v70, v10, v4, v70                                // 00000000B340: D1CB0046 051A090A
	v_fma_f32 v71, v11, v4, v71                                // 00000000B348: D1CB0047 051E090B
	v_mul_f32_dpp v6, v26, v49 row_newbcast:0 row_mask:0xf bank_mask:0xf// 00000000B350: 0A0C62FA FF01501A
	v_mfma_f32_16x16x32_fp8_fp8 v[8:11], a[112:113], a[8:9], 0 // 00000000B358: D3F30008 1A021170
	buffer_load_dwordx4 a[104:107], v67, s[24:27], 0 offen     // 00000000B360: E05C1000 80866843
	v_mfma_f32_16x16x32_fp8_fp8 v[8:11], a[114:115], a[10:11], v[8:11]// 00000000B368: D3F30008 1C221572
	v_mfma_f32_16x16x32_fp8_fp8 v[8:11], a[116:117], a[12:13], v[8:11]// 00000000B370: D3F30008 1C221974
	v_mfma_f32_16x16x32_fp8_fp8 v[8:11], a[118:119], a[14:15], v[8:11]// 00000000B378: D3F30008 1C221D76
	v_fma_f32 v92, v12, v4, v92                                // 00000000B380: D1CB005C 0572090C
	v_fma_f32 v93, v13, v4, v93                                // 00000000B388: D1CB005D 0576090D
	v_fma_f32 v94, v14, v4, v94                                // 00000000B390: D1CB005E 057A090E
	v_fma_f32 v95, v15, v4, v95                                // 00000000B398: D1CB005F 057E090F
	v_mfma_f32_16x16x32_fp8_fp8 v[12:15], a[120:121], a[8:9], 0// 00000000B3A0: D3F3000C 1A021178
	buffer_load_dwordx4 a[108:111], v67, s[24:27], 0 offen offset:1024// 00000000B3A8: E05C1400 80866C43
	buffer_load_dword v54, s[20:23], 0 offen lds               // 00000000B3B0: E0511000 80050036
	s_add_u32 m0, 0x100, s49                                   // 00000000B3B8: 807C31FF 00000100
	v_mfma_f32_16x16x32_fp8_fp8 v[12:15], a[122:123], a[10:11], v[12:15]// 00000000B3C0: D3F3000C 1C32157A
	v_mfma_f32_16x16x32_fp8_fp8 v[12:15], a[124:125], a[12:13], v[12:15]// 00000000B3C8: D3F3000C 1C32197C
	buffer_load_dword v55, s[20:23], 0 offen lds               // 00000000B3D0: E0511000 80050037
	s_add_u32 m0, 0x200, s49                                   // 00000000B3D8: 807C31FF 00000200
	v_mfma_f32_16x16x32_fp8_fp8 v[12:15], a[126:127], a[14:15], v[12:15]// 00000000B3E0: D3F3000C 1C321D7E
	v_fma_f32 v72, v8, v6, v72                                 // 00000000B3E8: D1CB0048 05220D08
	v_fma_f32 v73, v9, v6, v73                                 // 00000000B3F0: D1CB0049 05260D09
	v_fma_f32 v74, v10, v6, v74                                // 00000000B3F8: D1CB004A 052A0D0A
	v_fma_f32 v75, v11, v6, v75                                // 00000000B400: D1CB004B 052E0D0B
	v_mul_f32_dpp v4, v26, v50 row_newbcast:0 row_mask:0xf bank_mask:0xf// 00000000B408: 0A0864FA FF01501A
	v_mfma_f32_16x16x32_fp8_fp8 v[8:11], a[112:113], a[16:17], 0// 00000000B410: D3F30008 1A022170
	buffer_load_dword v56, s[20:23], 0 offen lds               // 00000000B418: E0511000 80050038
	s_add_u32 m0, 0x300, s49                                   // 00000000B420: 807C31FF 00000300
	v_mfma_f32_16x16x32_fp8_fp8 v[8:11], a[114:115], a[18:19], v[8:11]// 00000000B428: D3F30008 1C222572
	v_mfma_f32_16x16x32_fp8_fp8 v[8:11], a[116:117], a[20:21], v[8:11]// 00000000B430: D3F30008 1C222974
	buffer_load_dword v57, s[20:23], 0 offen lds               // 00000000B438: E0511000 80050039
	s_add_u32 m0, 0x400, s49                                   // 00000000B440: 807C31FF 00000400
	v_mfma_f32_16x16x32_fp8_fp8 v[8:11], a[118:119], a[22:23], v[8:11]// 00000000B448: D3F30008 1C222D76
	v_fma_f32 v96, v12, v6, v96                                // 00000000B450: D1CB0060 05820D0C
	v_fma_f32 v97, v13, v6, v97                                // 00000000B458: D1CB0061 05860D0D
	v_fma_f32 v98, v14, v6, v98                                // 00000000B460: D1CB0062 058A0D0E
	v_fma_f32 v99, v15, v6, v99                                // 00000000B468: D1CB0063 058E0D0F
	v_mfma_f32_16x16x32_fp8_fp8 v[12:15], a[120:121], a[16:17], 0// 00000000B470: D3F3000C 1A022178
	buffer_load_dword v58, s[20:23], 0 offen lds               // 00000000B478: E0511000 8005003A
	s_add_u32 m0, 0x500, s49                                   // 00000000B480: 807C31FF 00000500
	v_mfma_f32_16x16x32_fp8_fp8 v[12:15], a[122:123], a[18:19], v[12:15]// 00000000B488: D3F3000C 1C32257A
	v_mfma_f32_16x16x32_fp8_fp8 v[12:15], a[124:125], a[20:21], v[12:15]// 00000000B490: D3F3000C 1C32297C
	buffer_load_dword v59, s[20:23], 0 offen lds               // 00000000B498: E0511000 8005003B
	s_add_u32 m0, 0x600, s49                                   // 00000000B4A0: 807C31FF 00000600
	v_mfma_f32_16x16x32_fp8_fp8 v[12:15], a[126:127], a[22:23], v[12:15]// 00000000B4A8: D3F3000C 1C322D7E
	v_fma_f32 v76, v8, v4, v76                                 // 00000000B4B0: D1CB004C 05320908
	v_fma_f32 v77, v9, v4, v77                                 // 00000000B4B8: D1CB004D 05360909
	v_fma_f32 v78, v10, v4, v78                                // 00000000B4C0: D1CB004E 053A090A
	v_fma_f32 v79, v11, v4, v79                                // 00000000B4C8: D1CB004F 053E090B
	v_mul_f32_dpp v6, v26, v51 row_newbcast:0 row_mask:0xf bank_mask:0xf// 00000000B4D0: 0A0C66FA FF01501A
	v_mfma_f32_16x16x32_fp8_fp8 v[8:11], a[112:113], a[24:25], 0// 00000000B4D8: D3F30008 1A023170
	buffer_load_dword v60, s[20:23], 0 offen lds               // 00000000B4E0: E0511000 8005003C
	s_add_u32 m0, 0x700, s49                                   // 00000000B4E8: 807C31FF 00000700
	v_mfma_f32_16x16x32_fp8_fp8 v[8:11], a[114:115], a[26:27], v[8:11]// 00000000B4F0: D3F30008 1C223572
	v_mfma_f32_16x16x32_fp8_fp8 v[8:11], a[116:117], a[28:29], v[8:11]// 00000000B4F8: D3F30008 1C223974
	buffer_load_dword v61, s[20:23], 0 offen lds               // 00000000B500: E0511000 8005003D
	s_add_u32 m0, 0x800, s49                                   // 00000000B508: 807C31FF 00000800
	v_mfma_f32_16x16x32_fp8_fp8 v[8:11], a[118:119], a[30:31], v[8:11]// 00000000B510: D3F30008 1C223D76
	v_fma_f32 v100, v12, v4, v100                              // 00000000B518: D1CB0064 0592090C
	v_fma_f32 v101, v13, v4, v101                              // 00000000B520: D1CB0065 0596090D
	v_fma_f32 v102, v14, v4, v102                              // 00000000B528: D1CB0066 059A090E
	v_fma_f32 v103, v15, v4, v103                              // 00000000B530: D1CB0067 059E090F
	v_mfma_f32_16x16x32_fp8_fp8 v[12:15], a[120:121], a[24:25], 0// 00000000B538: D3F3000C 1A023178
	buffer_load_dword v62, s[20:23], 0 offen lds               // 00000000B540: E0511000 8005003E
	s_add_u32 m0, 0x900, s49                                   // 00000000B548: 807C31FF 00000900
	v_mfma_f32_16x16x32_fp8_fp8 v[12:15], a[122:123], a[26:27], v[12:15]// 00000000B550: D3F3000C 1C32357A
	v_mfma_f32_16x16x32_fp8_fp8 v[12:15], a[124:125], a[28:29], v[12:15]// 00000000B558: D3F3000C 1C32397C
	buffer_load_dword v63, s[20:23], 0 offen lds               // 00000000B560: E0511000 8005003F
	s_add_u32 m0, 0xa00, s49                                   // 00000000B568: 807C31FF 00000A00
	v_mfma_f32_16x16x32_fp8_fp8 v[12:15], a[126:127], a[30:31], v[12:15]// 00000000B570: D3F3000C 1C323D7E
	v_fma_f32 v80, v8, v6, v80                                 // 00000000B578: D1CB0050 05420D08
	v_fma_f32 v81, v9, v6, v81                                 // 00000000B580: D1CB0051 05460D09
	v_fma_f32 v82, v10, v6, v82                                // 00000000B588: D1CB0052 054A0D0A
	v_fma_f32 v83, v11, v6, v83                                // 00000000B590: D1CB0053 054E0D0B
	v_mul_f32_dpp v4, v26, v52 row_newbcast:0 row_mask:0xf bank_mask:0xf// 00000000B598: 0A0868FA FF01501A
	v_mfma_f32_16x16x32_fp8_fp8 v[8:11], a[112:113], a[32:33], 0// 00000000B5A0: D3F30008 1A024170
	buffer_load_dword v64, s[20:23], 0 offen lds               // 00000000B5A8: E0511000 80050040
	s_add_u32 m0, 0xb00, s49                                   // 00000000B5B0: 807C31FF 00000B00
	v_mfma_f32_16x16x32_fp8_fp8 v[8:11], a[114:115], a[34:35], v[8:11]// 00000000B5B8: D3F30008 1C224572
	v_mfma_f32_16x16x32_fp8_fp8 v[8:11], a[116:117], a[36:37], v[8:11]// 00000000B5C0: D3F30008 1C224974
	buffer_load_dword v65, s[20:23], 0 offen lds               // 00000000B5C8: E0511000 80050041
	s_add_u32 m0, 0, s50                                       // 00000000B5D0: 807C3280
	v_mfma_f32_16x16x32_fp8_fp8 v[8:11], a[118:119], a[38:39], v[8:11]// 00000000B5D4: D3F30008 1C224D76
	v_fma_f32 v104, v12, v6, v104                              // 00000000B5DC: D1CB0068 05A20D0C
	v_fma_f32 v105, v13, v6, v105                              // 00000000B5E4: D1CB0069 05A60D0D
	v_fma_f32 v106, v14, v6, v106                              // 00000000B5EC: D1CB006A 05AA0D0E
	v_fma_f32 v107, v15, v6, v107                              // 00000000B5F4: D1CB006B 05AE0D0F
	v_mfma_f32_16x16x32_fp8_fp8 v[12:15], a[120:121], a[32:33], 0// 00000000B5FC: D3F3000C 1A024178
	buffer_load_dword v42, v30, s[28:31], 0 offen              // 00000000B604: E0501000 80072A1E
	v_mfma_f32_16x16x32_fp8_fp8 v[12:15], a[122:123], a[34:35], v[12:15]// 00000000B60C: D3F3000C 1C32457A
	v_mfma_f32_16x16x32_fp8_fp8 v[12:15], a[124:125], a[36:37], v[12:15]// 00000000B614: D3F3000C 1C32497C
	buffer_load_dword v43, v31, s[28:31], 0 offen              // 00000000B61C: E0501000 80072B1F
	v_mfma_f32_16x16x32_fp8_fp8 v[12:15], a[126:127], a[38:39], v[12:15]// 00000000B624: D3F3000C 1C324D7E
	v_fma_f32 v84, v8, v4, v84                                 // 00000000B62C: D1CB0054 05520908
	v_fma_f32 v85, v9, v4, v85                                 // 00000000B634: D1CB0055 05560909
	v_fma_f32 v86, v10, v4, v86                                // 00000000B63C: D1CB0056 055A090A
	v_fma_f32 v87, v11, v4, v87                                // 00000000B644: D1CB0057 055E090B
	v_mul_f32_dpp v6, v26, v53 row_newbcast:0 row_mask:0xf bank_mask:0xf// 00000000B64C: 0A0C6AFA FF01501A
	v_mfma_f32_16x16x32_fp8_fp8 v[8:11], a[112:113], a[40:41], 0// 00000000B654: D3F30008 1A025170
	buffer_load_dword v44, v32, s[28:31], 0 offen              // 00000000B65C: E0501000 80072C20
	v_mfma_f32_16x16x32_fp8_fp8 v[8:11], a[114:115], a[42:43], v[8:11]// 00000000B664: D3F30008 1C225572
	v_mfma_f32_16x16x32_fp8_fp8 v[8:11], a[116:117], a[44:45], v[8:11]// 00000000B66C: D3F30008 1C225974
	buffer_load_dword v45, v33, s[28:31], 0 offen              // 00000000B674: E0501000 80072D21
	v_mfma_f32_16x16x32_fp8_fp8 v[8:11], a[118:119], a[46:47], v[8:11]// 00000000B67C: D3F30008 1C225D76
	v_fma_f32 v108, v12, v4, v108                              // 00000000B684: D1CB006C 05B2090C
	v_fma_f32 v109, v13, v4, v109                              // 00000000B68C: D1CB006D 05B6090D
	v_fma_f32 v110, v14, v4, v110                              // 00000000B694: D1CB006E 05BA090E
	v_fma_f32 v111, v15, v4, v111                              // 00000000B69C: D1CB006F 05BE090F
	v_mfma_f32_16x16x32_fp8_fp8 v[12:15], a[120:121], a[40:41], 0// 00000000B6A4: D3F3000C 1A025178
	buffer_load_dword v46, v34, s[28:31], 0 offen              // 00000000B6AC: E0501000 80072E22
	v_mfma_f32_16x16x32_fp8_fp8 v[12:15], a[122:123], a[42:43], v[12:15]// 00000000B6B4: D3F3000C 1C32557A
	v_mfma_f32_16x16x32_fp8_fp8 v[12:15], a[124:125], a[44:45], v[12:15]// 00000000B6BC: D3F3000C 1C32597C
	buffer_load_dword v47, v35, s[28:31], 0 offen              // 00000000B6C4: E0501000 80072F23
	v_mfma_f32_16x16x32_fp8_fp8 v[12:15], a[126:127], a[46:47], v[12:15]// 00000000B6CC: D3F3000C 1C325D7E
	v_fma_f32 v88, v8, v6, v88                                 // 00000000B6D4: D1CB0058 05620D08
	v_fma_f32 v89, v9, v6, v89                                 // 00000000B6DC: D1CB0059 05660D09
	v_fma_f32 v90, v10, v6, v90                                // 00000000B6E4: D1CB005A 056A0D0A
	v_fma_f32 v91, v11, v6, v91                                // 00000000B6EC: D1CB005B 056E0D0B
	v_fma_f32 v112, v12, v6, v112                              // 00000000B6F4: D1CB0070 05C20D0C
	v_fma_f32 v113, v13, v6, v113                              // 00000000B6FC: D1CB0071 05C60D0D
	v_fma_f32 v114, v14, v6, v114                              // 00000000B704: D1CB0072 05CA0D0E
	v_fma_f32 v115, v15, v6, v115                              // 00000000B70C: D1CB0073 05CE0D0F
	s_waitcnt vmcnt(23)                                        // 00000000B714: BF8C4F77
	s_barrier                                                  // 00000000B718: BF8A0000
	v_mul_f32_dpp v4, v29, v48 row_newbcast:0 row_mask:0xf bank_mask:0xf// 00000000B71C: 0A0860FA FF01501D
	v_mfma_f32_16x16x32_fp8_fp8 v[8:11], a[128:129], a[0:1], 0 // 00000000B724: D3F30008 1A020180
	buffer_load_dword v27, v23, s[32:35], 0 offen              // 00000000B72C: E0501000 80081B17
	buffer_load_dwordx4 a[112:115], v66, s[84:87], 0 offen     // 00000000B734: E05C1000 80957042
	v_mfma_f32_16x16x32_fp8_fp8 v[8:11], a[130:131], a[2:3], v[8:11]// 00000000B73C: D3F30008 1C220582
	v_mfma_f32_16x16x32_fp8_fp8 v[8:11], a[132:133], a[4:5], v[8:11]// 00000000B744: D3F30008 1C220984
	ds_read_b128 a[48:51], v2                                  // 00000000B74C: DBFE0000 30000002
	ds_read_b128 a[52:55], v2 offset:64                        // 00000000B754: DBFE0040 34000002
	v_mfma_f32_16x16x32_fp8_fp8 v[8:11], a[134:135], a[6:7], v[8:11]// 00000000B75C: D3F30008 1C220D86
	v_mfma_f32_16x16x32_fp8_fp8 v[12:15], a[136:137], a[0:1], 0// 00000000B764: D3F3000C 1A020188
	buffer_load_dwordx4 a[116:119], v66, s[84:87], 0 offen offset:1024// 00000000B76C: E05C1400 80957442
	v_mfma_f32_16x16x32_fp8_fp8 v[12:15], a[138:139], a[2:3], v[12:15]// 00000000B774: D3F3000C 1C32058A
	v_mfma_f32_16x16x32_fp8_fp8 v[12:15], a[140:141], a[4:5], v[12:15]// 00000000B77C: D3F3000C 1C32098C
	ds_read_b128 a[56:59], v2 offset:512                       // 00000000B784: DBFE0200 38000002
	ds_read_b128 a[60:63], v2 offset:576                       // 00000000B78C: DBFE0240 3C000002
	v_mfma_f32_16x16x32_fp8_fp8 v[12:15], a[142:143], a[6:7], v[12:15]// 00000000B794: D3F3000C 1C320D8E
	v_fma_f32 v116, v8, v4, v116                               // 00000000B79C: D1CB0074 05D20908
	v_fma_f32 v117, v9, v4, v117                               // 00000000B7A4: D1CB0075 05D60909
	v_fma_f32 v118, v10, v4, v118                              // 00000000B7AC: D1CB0076 05DA090A
	v_fma_f32 v119, v11, v4, v119                              // 00000000B7B4: D1CB0077 05DE090B
	v_mul_f32_dpp v6, v29, v49 row_newbcast:0 row_mask:0xf bank_mask:0xf// 00000000B7BC: 0A0C62FA FF01501D
	v_mfma_f32_16x16x32_fp8_fp8 v[8:11], a[128:129], a[8:9], 0 // 00000000B7C4: D3F30008 1A021180
	buffer_load_dwordx4 a[120:123], v67, s[84:87], 0 offen     // 00000000B7CC: E05C1000 80957843
	v_mfma_f32_16x16x32_fp8_fp8 v[8:11], a[130:131], a[10:11], v[8:11]// 00000000B7D4: D3F30008 1C221582
	v_mfma_f32_16x16x32_fp8_fp8 v[8:11], a[132:133], a[12:13], v[8:11]// 00000000B7DC: D3F30008 1C221984
	ds_read_b128 a[64:67], v2 offset:1024                      // 00000000B7E4: DBFE0400 40000002
	ds_read_b128 a[68:71], v2 offset:1088                      // 00000000B7EC: DBFE0440 44000002
	v_mfma_f32_16x16x32_fp8_fp8 v[8:11], a[134:135], a[14:15], v[8:11]// 00000000B7F4: D3F30008 1C221D86
	v_fma_f32 v140, v12, v4, v140                              // 00000000B7FC: D1CB008C 0632090C
	v_fma_f32 v141, v13, v4, v141                              // 00000000B804: D1CB008D 0636090D
	v_fma_f32 v142, v14, v4, v142                              // 00000000B80C: D1CB008E 063A090E
	v_fma_f32 v143, v15, v4, v143                              // 00000000B814: D1CB008F 063E090F
	v_mfma_f32_16x16x32_fp8_fp8 v[12:15], a[136:137], a[8:9], 0// 00000000B81C: D3F3000C 1A021188
	buffer_load_dwordx4 a[124:127], v67, s[84:87], 0 offen offset:1024// 00000000B824: E05C1400 80957C43
	v_mfma_f32_16x16x32_fp8_fp8 v[12:15], a[138:139], a[10:11], v[12:15]// 00000000B82C: D3F3000C 1C32158A
	v_mfma_f32_16x16x32_fp8_fp8 v[12:15], a[140:141], a[12:13], v[12:15]// 00000000B834: D3F3000C 1C32198C
	ds_read_b128 a[72:75], v2 offset:1536                      // 00000000B83C: DBFE0600 48000002
	ds_read_b128 a[76:79], v2 offset:1600                      // 00000000B844: DBFE0640 4C000002
	v_mfma_f32_16x16x32_fp8_fp8 v[12:15], a[142:143], a[14:15], v[12:15]// 00000000B84C: D3F3000C 1C321D8E
	v_fma_f32 v120, v8, v6, v120                               // 00000000B854: D1CB0078 05E20D08
	v_fma_f32 v121, v9, v6, v121                               // 00000000B85C: D1CB0079 05E60D09
	v_fma_f32 v122, v10, v6, v122                              // 00000000B864: D1CB007A 05EA0D0A
	v_fma_f32 v123, v11, v6, v123                              // 00000000B86C: D1CB007B 05EE0D0B
	v_mul_f32_dpp v4, v29, v50 row_newbcast:0 row_mask:0xf bank_mask:0xf// 00000000B874: 0A0864FA FF01501D
	v_mfma_f32_16x16x32_fp8_fp8 v[8:11], a[128:129], a[16:17], 0// 00000000B87C: D3F30008 1A022180
	v_mfma_f32_16x16x32_fp8_fp8 v[8:11], a[130:131], a[18:19], v[8:11]// 00000000B884: D3F30008 1C222582
	v_mfma_f32_16x16x32_fp8_fp8 v[8:11], a[132:133], a[20:21], v[8:11]// 00000000B88C: D3F30008 1C222984
	ds_read_b128 a[80:83], v2 offset:2048                      // 00000000B894: DBFE0800 50000002
	ds_read_b128 a[84:87], v2 offset:2112                      // 00000000B89C: DBFE0840 54000002
	v_mfma_f32_16x16x32_fp8_fp8 v[8:11], a[134:135], a[22:23], v[8:11]// 00000000B8A4: D3F30008 1C222D86
	v_fma_f32 v144, v12, v6, v144                              // 00000000B8AC: D1CB0090 06420D0C
	v_fma_f32 v145, v13, v6, v145                              // 00000000B8B4: D1CB0091 06460D0D
	v_fma_f32 v146, v14, v6, v146                              // 00000000B8BC: D1CB0092 064A0D0E
	v_fma_f32 v147, v15, v6, v147                              // 00000000B8C4: D1CB0093 064E0D0F
	v_mfma_f32_16x16x32_fp8_fp8 v[12:15], a[136:137], a[16:17], 0// 00000000B8CC: D3F3000C 1A022188
	v_mfma_f32_16x16x32_fp8_fp8 v[12:15], a[138:139], a[18:19], v[12:15]// 00000000B8D4: D3F3000C 1C32258A
	v_mfma_f32_16x16x32_fp8_fp8 v[12:15], a[140:141], a[20:21], v[12:15]// 00000000B8DC: D3F3000C 1C32298C
	ds_read_b128 a[88:91], v2 offset:2560                      // 00000000B8E4: DBFE0A00 58000002
	ds_read_b128 a[92:95], v2 offset:2624                      // 00000000B8EC: DBFE0A40 5C000002
	v_mfma_f32_16x16x32_fp8_fp8 v[12:15], a[142:143], a[22:23], v[12:15]// 00000000B8F4: D3F3000C 1C322D8E
	v_fma_f32 v124, v8, v4, v124                               // 00000000B8FC: D1CB007C 05F20908
	v_fma_f32 v125, v9, v4, v125                               // 00000000B904: D1CB007D 05F60909
	v_fma_f32 v126, v10, v4, v126                              // 00000000B90C: D1CB007E 05FA090A
	v_fma_f32 v127, v11, v4, v127                              // 00000000B914: D1CB007F 05FE090B
	v_mul_f32_dpp v6, v29, v51 row_newbcast:0 row_mask:0xf bank_mask:0xf// 00000000B91C: 0A0C66FA FF01501D
	v_mfma_f32_16x16x32_fp8_fp8 v[8:11], a[128:129], a[24:25], 0// 00000000B924: D3F30008 1A023180
	v_mfma_f32_16x16x32_fp8_fp8 v[8:11], a[130:131], a[26:27], v[8:11]// 00000000B92C: D3F30008 1C223582
	v_mfma_f32_16x16x32_fp8_fp8 v[8:11], a[132:133], a[28:29], v[8:11]// 00000000B934: D3F30008 1C223984
	v_mfma_f32_16x16x32_fp8_fp8 v[8:11], a[134:135], a[30:31], v[8:11]// 00000000B93C: D3F30008 1C223D86
	v_fma_f32 v148, v12, v4, v148                              // 00000000B944: D1CB0094 0652090C
	v_fma_f32 v149, v13, v4, v149                              // 00000000B94C: D1CB0095 0656090D
	v_fma_f32 v150, v14, v4, v150                              // 00000000B954: D1CB0096 065A090E
	v_fma_f32 v151, v15, v4, v151                              // 00000000B95C: D1CB0097 065E090F
	v_mfma_f32_16x16x32_fp8_fp8 v[12:15], a[136:137], a[24:25], 0// 00000000B964: D3F3000C 1A023188
	v_mfma_f32_16x16x32_fp8_fp8 v[12:15], a[138:139], a[26:27], v[12:15]// 00000000B96C: D3F3000C 1C32358A
	v_mfma_f32_16x16x32_fp8_fp8 v[12:15], a[140:141], a[28:29], v[12:15]// 00000000B974: D3F3000C 1C32398C
	v_mfma_f32_16x16x32_fp8_fp8 v[12:15], a[142:143], a[30:31], v[12:15]// 00000000B97C: D3F3000C 1C323D8E
	v_fma_f32 v128, v8, v6, v128                               // 00000000B984: D1CB0080 06020D08
	v_fma_f32 v129, v9, v6, v129                               // 00000000B98C: D1CB0081 06060D09
	v_fma_f32 v130, v10, v6, v130                              // 00000000B994: D1CB0082 060A0D0A
	v_fma_f32 v131, v11, v6, v131                              // 00000000B99C: D1CB0083 060E0D0B
	v_mul_f32_dpp v4, v29, v52 row_newbcast:0 row_mask:0xf bank_mask:0xf// 00000000B9A4: 0A0868FA FF01501D
	v_mfma_f32_16x16x32_fp8_fp8 v[8:11], a[128:129], a[32:33], 0// 00000000B9AC: D3F30008 1A024180
	v_mfma_f32_16x16x32_fp8_fp8 v[8:11], a[130:131], a[34:35], v[8:11]// 00000000B9B4: D3F30008 1C224582
	v_mfma_f32_16x16x32_fp8_fp8 v[8:11], a[132:133], a[36:37], v[8:11]// 00000000B9BC: D3F30008 1C224984
	v_mfma_f32_16x16x32_fp8_fp8 v[8:11], a[134:135], a[38:39], v[8:11]// 00000000B9C4: D3F30008 1C224D86
	v_fma_f32 v152, v12, v6, v152                              // 00000000B9CC: D1CB0098 06620D0C
	v_fma_f32 v153, v13, v6, v153                              // 00000000B9D4: D1CB0099 06660D0D
	v_fma_f32 v154, v14, v6, v154                              // 00000000B9DC: D1CB009A 066A0D0E
	v_fma_f32 v155, v15, v6, v155                              // 00000000B9E4: D1CB009B 066E0D0F
	v_mfma_f32_16x16x32_fp8_fp8 v[12:15], a[136:137], a[32:33], 0// 00000000B9EC: D3F3000C 1A024188
	v_mfma_f32_16x16x32_fp8_fp8 v[12:15], a[138:139], a[34:35], v[12:15]// 00000000B9F4: D3F3000C 1C32458A
	v_mfma_f32_16x16x32_fp8_fp8 v[12:15], a[140:141], a[36:37], v[12:15]// 00000000B9FC: D3F3000C 1C32498C
	v_mfma_f32_16x16x32_fp8_fp8 v[12:15], a[142:143], a[38:39], v[12:15]// 00000000BA04: D3F3000C 1C324D8E
	v_fma_f32 v132, v8, v4, v132                               // 00000000BA0C: D1CB0084 06120908
	v_fma_f32 v133, v9, v4, v133                               // 00000000BA14: D1CB0085 06160909
	v_fma_f32 v134, v10, v4, v134                              // 00000000BA1C: D1CB0086 061A090A
	v_fma_f32 v135, v11, v4, v135                              // 00000000BA24: D1CB0087 061E090B
	v_mul_f32_dpp v6, v29, v53 row_newbcast:0 row_mask:0xf bank_mask:0xf// 00000000BA2C: 0A0C6AFA FF01501D
	v_mfma_f32_16x16x32_fp8_fp8 v[8:11], a[128:129], a[40:41], 0// 00000000BA34: D3F30008 1A025180
	s_add_u32 s60, 0x180, s80                                  // 00000000BA3C: 803C50FF 00000180
	s_cmp_lt_u32 s60, s81                                      // 00000000BA44: BF0A513C
	s_cselect_b32 s57, s57, 0                                  // 00000000BA48: 85398039
	s_cselect_b32 s3, s3, 0                                    // 00000000BA4C: 85038003
	v_mfma_f32_16x16x32_fp8_fp8 v[8:11], a[130:131], a[42:43], v[8:11]// 00000000BA50: D3F30008 1C225582
	s_add_u32 s60, 0x100, s80                                  // 00000000BA58: 803C50FF 00000100
	s_cmp_lt_u32 s60, s81                                      // 00000000BA60: BF0A513C
	s_cselect_b32 s58, s58, 0                                  // 00000000BA64: 853A803A
	v_mfma_f32_16x16x32_fp8_fp8 v[8:11], a[132:133], a[44:45], v[8:11]// 00000000BA68: D3F30008 1C225984
	s_add_u32 s60, 0x100, s80                                  // 00000000BA70: 803C50FF 00000100
	s_cmp_lt_u32 s60, s81                                      // 00000000BA78: BF0A513C
	s_cselect_b32 s83, s83, 0                                  // 00000000BA7C: 85538053
	s_cselect_b32 s4, s4, 0                                    // 00000000BA80: 85048004
	v_mfma_f32_16x16x32_fp8_fp8 v[8:11], a[134:135], a[46:47], v[8:11]// 00000000BA84: D3F30008 1C225D86
	s_add_u32 s24, s58, s24                                    // 00000000BA8C: 8018183A
	s_addc_u32 s25, 0, s25                                     // 00000000BA90: 82191980
	v_fma_f32 v156, v12, v4, v156                              // 00000000BA94: D1CB009C 0672090C
	v_fma_f32 v157, v13, v4, v157                              // 00000000BA9C: D1CB009D 0676090D
	v_fma_f32 v158, v14, v4, v158                              // 00000000BAA4: D1CB009E 067A090E
	v_fma_f32 v159, v15, v4, v159                              // 00000000BAAC: D1CB009F 067E090F
	v_mfma_f32_16x16x32_fp8_fp8 v[12:15], a[136:137], a[40:41], 0// 00000000BAB4: D3F3000C 1A025188
	s_add_u32 s20, s57, s20                                    // 00000000BABC: 80141439
	s_addc_u32 s21, 0, s21                                     // 00000000BAC0: 82151580
	s_add_u32 s28, s3, s28                                     // 00000000BAC4: 801C1C03
	s_addc_u32 s29, 0, s29                                     // 00000000BAC8: 821D1D80
	v_mfma_f32_16x16x32_fp8_fp8 v[12:15], a[138:139], a[42:43], v[12:15]// 00000000BACC: D3F3000C 1C32558A
	s_add_u32 s84, s83, s84                                    // 00000000BAD4: 80545453
	s_addc_u32 s85, 0, s85                                     // 00000000BAD8: 82555580
	v_mfma_f32_16x16x32_fp8_fp8 v[12:15], a[140:141], a[44:45], v[12:15]// 00000000BADC: D3F3000C 1C32598C
	s_add_u32 s32, s4, s32                                     // 00000000BAE4: 80202004
	s_addc_u32 s33, 0, s33                                     // 00000000BAE8: 82212180
	v_mfma_f32_16x16x32_fp8_fp8 v[12:15], a[142:143], a[46:47], v[12:15]// 00000000BAEC: D3F3000C 1C325D8E
	v_fma_f32 v136, v8, v6, v136                               // 00000000BAF4: D1CB0088 06220D08
	v_fma_f32 v137, v9, v6, v137                               // 00000000BAFC: D1CB0089 06260D09
	v_fma_f32 v138, v10, v6, v138                              // 00000000BB04: D1CB008A 062A0D0A
	v_fma_f32 v139, v11, v6, v139                              // 00000000BB0C: D1CB008B 062E0D0B
	v_fma_f32 v160, v12, v6, v160                              // 00000000BB14: D1CB00A0 06820D0C
	v_fma_f32 v161, v13, v6, v161                              // 00000000BB1C: D1CB00A1 06860D0D
	v_fma_f32 v162, v14, v6, v162                              // 00000000BB24: D1CB00A2 068A0D0E
	v_fma_f32 v163, v15, v6, v163                              // 00000000BB2C: D1CB00A3 068E0D0F
	s_addk_i32 s80, 0x80                                       // 00000000BB34: B7500080
	s_cmp_lt_i32 s80, s81                                      // 00000000BB38: BF045150
	s_cbranch_scc0 label_2AAB                                  // 00000000BB3C: BF840658
	s_waitcnt vmcnt(23) lgkmcnt(0)                             // 00000000BB40: BF8C4077
	v_mul_f32_dpp v4, v24, v36 row_newbcast:0 row_mask:0xf bank_mask:0xf// 00000000BB44: 0A0848FA FF015018
	v_mfma_f32_16x16x32_fp8_fp8 v[8:11], a[96:97], a[48:49], 0 // 00000000BB4C: D3F30008 1A026160
	buffer_load_dword v25, v22, s[32:35], 0 offen              // 00000000BB54: E0501000 80081916
	buffer_load_dwordx4 a[128:131], v66, s[24:27], 0 offen     // 00000000BB5C: E05C1000 80868042
	v_mfma_f32_16x16x32_fp8_fp8 v[8:11], a[98:99], a[50:51], v[8:11]// 00000000BB64: D3F30008 1C226562
	v_mfma_f32_16x16x32_fp8_fp8 v[8:11], a[100:101], a[52:53], v[8:11]// 00000000BB6C: D3F30008 1C226964
	v_mfma_f32_16x16x32_fp8_fp8 v[8:11], a[102:103], a[54:55], v[8:11]// 00000000BB74: D3F30008 1C226D66
	v_mfma_f32_16x16x32_fp8_fp8 v[12:15], a[104:105], a[48:49], 0// 00000000BB7C: D3F3000C 1A026168
	buffer_load_dwordx4 a[132:135], v66, s[24:27], 0 offen offset:1024// 00000000BB84: E05C1400 80868442
	v_mfma_f32_16x16x32_fp8_fp8 v[12:15], a[106:107], a[50:51], v[12:15]// 00000000BB8C: D3F3000C 1C32656A
	v_mfma_f32_16x16x32_fp8_fp8 v[12:15], a[108:109], a[52:53], v[12:15]// 00000000BB94: D3F3000C 1C32696C
	v_mfma_f32_16x16x32_fp8_fp8 v[12:15], a[110:111], a[54:55], v[12:15]// 00000000BB9C: D3F3000C 1C326D6E
	v_fma_f32 v68, v8, v4, v68                                 // 00000000BBA4: D1CB0044 05120908
	v_fma_f32 v69, v9, v4, v69                                 // 00000000BBAC: D1CB0045 05160909
	v_fma_f32 v70, v10, v4, v70                                // 00000000BBB4: D1CB0046 051A090A
	v_fma_f32 v71, v11, v4, v71                                // 00000000BBBC: D1CB0047 051E090B
	v_mul_f32_dpp v6, v24, v37 row_newbcast:0 row_mask:0xf bank_mask:0xf// 00000000BBC4: 0A0C4AFA FF015018
	v_mfma_f32_16x16x32_fp8_fp8 v[8:11], a[96:97], a[56:57], 0 // 00000000BBCC: D3F30008 1A027160
	buffer_load_dwordx4 a[136:139], v67, s[24:27], 0 offen     // 00000000BBD4: E05C1000 80868843
	v_mfma_f32_16x16x32_fp8_fp8 v[8:11], a[98:99], a[58:59], v[8:11]// 00000000BBDC: D3F30008 1C227562
	v_mfma_f32_16x16x32_fp8_fp8 v[8:11], a[100:101], a[60:61], v[8:11]// 00000000BBE4: D3F30008 1C227964
	v_mfma_f32_16x16x32_fp8_fp8 v[8:11], a[102:103], a[62:63], v[8:11]// 00000000BBEC: D3F30008 1C227D66
	v_fma_f32 v92, v12, v4, v92                                // 00000000BBF4: D1CB005C 0572090C
	v_fma_f32 v93, v13, v4, v93                                // 00000000BBFC: D1CB005D 0576090D
	v_fma_f32 v94, v14, v4, v94                                // 00000000BC04: D1CB005E 057A090E
	v_fma_f32 v95, v15, v4, v95                                // 00000000BC0C: D1CB005F 057E090F
	v_mfma_f32_16x16x32_fp8_fp8 v[12:15], a[104:105], a[56:57], 0// 00000000BC14: D3F3000C 1A027168
	buffer_load_dwordx4 a[140:143], v67, s[24:27], 0 offen offset:1024// 00000000BC1C: E05C1400 80868C43
	buffer_load_dword v54, s[20:23], 0 offen lds               // 00000000BC24: E0511000 80050036
	s_add_u32 m0, 0x100, s50                                   // 00000000BC2C: 807C32FF 00000100
	v_mfma_f32_16x16x32_fp8_fp8 v[12:15], a[106:107], a[58:59], v[12:15]// 00000000BC34: D3F3000C 1C32756A
	v_mfma_f32_16x16x32_fp8_fp8 v[12:15], a[108:109], a[60:61], v[12:15]// 00000000BC3C: D3F3000C 1C32796C
	buffer_load_dword v55, s[20:23], 0 offen lds               // 00000000BC44: E0511000 80050037
	s_add_u32 m0, 0x200, s50                                   // 00000000BC4C: 807C32FF 00000200
	v_mfma_f32_16x16x32_fp8_fp8 v[12:15], a[110:111], a[62:63], v[12:15]// 00000000BC54: D3F3000C 1C327D6E
	v_fma_f32 v72, v8, v6, v72                                 // 00000000BC5C: D1CB0048 05220D08
	v_fma_f32 v73, v9, v6, v73                                 // 00000000BC64: D1CB0049 05260D09
	v_fma_f32 v74, v10, v6, v74                                // 00000000BC6C: D1CB004A 052A0D0A
	v_fma_f32 v75, v11, v6, v75                                // 00000000BC74: D1CB004B 052E0D0B
	v_mul_f32_dpp v4, v24, v38 row_newbcast:0 row_mask:0xf bank_mask:0xf// 00000000BC7C: 0A084CFA FF015018
	v_mfma_f32_16x16x32_fp8_fp8 v[8:11], a[96:97], a[64:65], 0 // 00000000BC84: D3F30008 1A028160
	buffer_load_dword v56, s[20:23], 0 offen lds               // 00000000BC8C: E0511000 80050038
	s_add_u32 m0, 0x300, s50                                   // 00000000BC94: 807C32FF 00000300
	v_mfma_f32_16x16x32_fp8_fp8 v[8:11], a[98:99], a[66:67], v[8:11]// 00000000BC9C: D3F30008 1C228562
	v_mfma_f32_16x16x32_fp8_fp8 v[8:11], a[100:101], a[68:69], v[8:11]// 00000000BCA4: D3F30008 1C228964
	buffer_load_dword v57, s[20:23], 0 offen lds               // 00000000BCAC: E0511000 80050039
	s_add_u32 m0, 0x400, s50                                   // 00000000BCB4: 807C32FF 00000400
	v_mfma_f32_16x16x32_fp8_fp8 v[8:11], a[102:103], a[70:71], v[8:11]// 00000000BCBC: D3F30008 1C228D66
	v_fma_f32 v96, v12, v6, v96                                // 00000000BCC4: D1CB0060 05820D0C
	v_fma_f32 v97, v13, v6, v97                                // 00000000BCCC: D1CB0061 05860D0D
	v_fma_f32 v98, v14, v6, v98                                // 00000000BCD4: D1CB0062 058A0D0E
	v_fma_f32 v99, v15, v6, v99                                // 00000000BCDC: D1CB0063 058E0D0F
	v_mfma_f32_16x16x32_fp8_fp8 v[12:15], a[104:105], a[64:65], 0// 00000000BCE4: D3F3000C 1A028168
	buffer_load_dword v58, s[20:23], 0 offen lds               // 00000000BCEC: E0511000 8005003A
	s_add_u32 m0, 0x500, s50                                   // 00000000BCF4: 807C32FF 00000500
	v_mfma_f32_16x16x32_fp8_fp8 v[12:15], a[106:107], a[66:67], v[12:15]// 00000000BCFC: D3F3000C 1C32856A
	v_mfma_f32_16x16x32_fp8_fp8 v[12:15], a[108:109], a[68:69], v[12:15]// 00000000BD04: D3F3000C 1C32896C
	buffer_load_dword v59, s[20:23], 0 offen lds               // 00000000BD0C: E0511000 8005003B
	s_add_u32 m0, 0x600, s50                                   // 00000000BD14: 807C32FF 00000600
	v_mfma_f32_16x16x32_fp8_fp8 v[12:15], a[110:111], a[70:71], v[12:15]// 00000000BD1C: D3F3000C 1C328D6E
	v_fma_f32 v76, v8, v4, v76                                 // 00000000BD24: D1CB004C 05320908
	v_fma_f32 v77, v9, v4, v77                                 // 00000000BD2C: D1CB004D 05360909
	v_fma_f32 v78, v10, v4, v78                                // 00000000BD34: D1CB004E 053A090A
	v_fma_f32 v79, v11, v4, v79                                // 00000000BD3C: D1CB004F 053E090B
	v_mul_f32_dpp v6, v24, v39 row_newbcast:0 row_mask:0xf bank_mask:0xf// 00000000BD44: 0A0C4EFA FF015018
	v_mfma_f32_16x16x32_fp8_fp8 v[8:11], a[96:97], a[72:73], 0 // 00000000BD4C: D3F30008 1A029160
	buffer_load_dword v60, s[20:23], 0 offen lds               // 00000000BD54: E0511000 8005003C
	s_add_u32 m0, 0x700, s50                                   // 00000000BD5C: 807C32FF 00000700
	v_mfma_f32_16x16x32_fp8_fp8 v[8:11], a[98:99], a[74:75], v[8:11]// 00000000BD64: D3F30008 1C229562
	v_mfma_f32_16x16x32_fp8_fp8 v[8:11], a[100:101], a[76:77], v[8:11]// 00000000BD6C: D3F30008 1C229964
	buffer_load_dword v61, s[20:23], 0 offen lds               // 00000000BD74: E0511000 8005003D
	s_add_u32 m0, 0x800, s50                                   // 00000000BD7C: 807C32FF 00000800
	v_mfma_f32_16x16x32_fp8_fp8 v[8:11], a[102:103], a[78:79], v[8:11]// 00000000BD84: D3F30008 1C229D66
	v_fma_f32 v100, v12, v4, v100                              // 00000000BD8C: D1CB0064 0592090C
	v_fma_f32 v101, v13, v4, v101                              // 00000000BD94: D1CB0065 0596090D
	v_fma_f32 v102, v14, v4, v102                              // 00000000BD9C: D1CB0066 059A090E
	v_fma_f32 v103, v15, v4, v103                              // 00000000BDA4: D1CB0067 059E090F
	v_mfma_f32_16x16x32_fp8_fp8 v[12:15], a[104:105], a[72:73], 0// 00000000BDAC: D3F3000C 1A029168
	buffer_load_dword v62, s[20:23], 0 offen lds               // 00000000BDB4: E0511000 8005003E
	s_add_u32 m0, 0x900, s50                                   // 00000000BDBC: 807C32FF 00000900
	v_mfma_f32_16x16x32_fp8_fp8 v[12:15], a[106:107], a[74:75], v[12:15]// 00000000BDC4: D3F3000C 1C32956A
	v_mfma_f32_16x16x32_fp8_fp8 v[12:15], a[108:109], a[76:77], v[12:15]// 00000000BDCC: D3F3000C 1C32996C
	buffer_load_dword v63, s[20:23], 0 offen lds               // 00000000BDD4: E0511000 8005003F
	s_add_u32 m0, 0xa00, s50                                   // 00000000BDDC: 807C32FF 00000A00
	v_mfma_f32_16x16x32_fp8_fp8 v[12:15], a[110:111], a[78:79], v[12:15]// 00000000BDE4: D3F3000C 1C329D6E
	v_fma_f32 v80, v8, v6, v80                                 // 00000000BDEC: D1CB0050 05420D08
	v_fma_f32 v81, v9, v6, v81                                 // 00000000BDF4: D1CB0051 05460D09
	v_fma_f32 v82, v10, v6, v82                                // 00000000BDFC: D1CB0052 054A0D0A
	v_fma_f32 v83, v11, v6, v83                                // 00000000BE04: D1CB0053 054E0D0B
	v_mul_f32_dpp v4, v24, v40 row_newbcast:0 row_mask:0xf bank_mask:0xf// 00000000BE0C: 0A0850FA FF015018
	v_mfma_f32_16x16x32_fp8_fp8 v[8:11], a[96:97], a[80:81], 0 // 00000000BE14: D3F30008 1A02A160
	buffer_load_dword v64, s[20:23], 0 offen lds               // 00000000BE1C: E0511000 80050040
	s_add_u32 m0, 0xb00, s50                                   // 00000000BE24: 807C32FF 00000B00
	v_mfma_f32_16x16x32_fp8_fp8 v[8:11], a[98:99], a[82:83], v[8:11]// 00000000BE2C: D3F30008 1C22A562
	v_mfma_f32_16x16x32_fp8_fp8 v[8:11], a[100:101], a[84:85], v[8:11]// 00000000BE34: D3F30008 1C22A964
	buffer_load_dword v65, s[20:23], 0 offen lds               // 00000000BE3C: E0511000 80050041
	s_add_u32 m0, 0, s48                                       // 00000000BE44: 807C3080
	v_mfma_f32_16x16x32_fp8_fp8 v[8:11], a[102:103], a[86:87], v[8:11]// 00000000BE48: D3F30008 1C22AD66
	v_fma_f32 v104, v12, v6, v104                              // 00000000BE50: D1CB0068 05A20D0C
	v_fma_f32 v105, v13, v6, v105                              // 00000000BE58: D1CB0069 05A60D0D
	v_fma_f32 v106, v14, v6, v106                              // 00000000BE60: D1CB006A 05AA0D0E
	v_fma_f32 v107, v15, v6, v107                              // 00000000BE68: D1CB006B 05AE0D0F
	v_mfma_f32_16x16x32_fp8_fp8 v[12:15], a[104:105], a[80:81], 0// 00000000BE70: D3F3000C 1A02A168
	buffer_load_dword v48, v30, s[28:31], 0 offen              // 00000000BE78: E0501000 8007301E
	v_mfma_f32_16x16x32_fp8_fp8 v[12:15], a[106:107], a[82:83], v[12:15]// 00000000BE80: D3F3000C 1C32A56A
	v_mfma_f32_16x16x32_fp8_fp8 v[12:15], a[108:109], a[84:85], v[12:15]// 00000000BE88: D3F3000C 1C32A96C
	buffer_load_dword v49, v31, s[28:31], 0 offen              // 00000000BE90: E0501000 8007311F
	v_mfma_f32_16x16x32_fp8_fp8 v[12:15], a[110:111], a[86:87], v[12:15]// 00000000BE98: D3F3000C 1C32AD6E
	v_fma_f32 v84, v8, v4, v84                                 // 00000000BEA0: D1CB0054 05520908
	v_fma_f32 v85, v9, v4, v85                                 // 00000000BEA8: D1CB0055 05560909
	v_fma_f32 v86, v10, v4, v86                                // 00000000BEB0: D1CB0056 055A090A
	v_fma_f32 v87, v11, v4, v87                                // 00000000BEB8: D1CB0057 055E090B
	v_mul_f32_dpp v6, v24, v41 row_newbcast:0 row_mask:0xf bank_mask:0xf// 00000000BEC0: 0A0C52FA FF015018
	v_mfma_f32_16x16x32_fp8_fp8 v[8:11], a[96:97], a[88:89], 0 // 00000000BEC8: D3F30008 1A02B160
	buffer_load_dword v50, v32, s[28:31], 0 offen              // 00000000BED0: E0501000 80073220
	v_mfma_f32_16x16x32_fp8_fp8 v[8:11], a[98:99], a[90:91], v[8:11]// 00000000BED8: D3F30008 1C22B562
	v_mfma_f32_16x16x32_fp8_fp8 v[8:11], a[100:101], a[92:93], v[8:11]// 00000000BEE0: D3F30008 1C22B964
	buffer_load_dword v51, v33, s[28:31], 0 offen              // 00000000BEE8: E0501000 80073321
	v_mfma_f32_16x16x32_fp8_fp8 v[8:11], a[102:103], a[94:95], v[8:11]// 00000000BEF0: D3F30008 1C22BD66
	v_fma_f32 v108, v12, v4, v108                              // 00000000BEF8: D1CB006C 05B2090C
	v_fma_f32 v109, v13, v4, v109                              // 00000000BF00: D1CB006D 05B6090D
	v_fma_f32 v110, v14, v4, v110                              // 00000000BF08: D1CB006E 05BA090E
	v_fma_f32 v111, v15, v4, v111                              // 00000000BF10: D1CB006F 05BE090F
	v_mfma_f32_16x16x32_fp8_fp8 v[12:15], a[104:105], a[88:89], 0// 00000000BF18: D3F3000C 1A02B168
	buffer_load_dword v52, v34, s[28:31], 0 offen              // 00000000BF20: E0501000 80073422
	v_mfma_f32_16x16x32_fp8_fp8 v[12:15], a[106:107], a[90:91], v[12:15]// 00000000BF28: D3F3000C 1C32B56A
	v_mfma_f32_16x16x32_fp8_fp8 v[12:15], a[108:109], a[92:93], v[12:15]// 00000000BF30: D3F3000C 1C32B96C
	buffer_load_dword v53, v35, s[28:31], 0 offen              // 00000000BF38: E0501000 80073523
	v_mfma_f32_16x16x32_fp8_fp8 v[12:15], a[110:111], a[94:95], v[12:15]// 00000000BF40: D3F3000C 1C32BD6E
	v_fma_f32 v88, v8, v6, v88                                 // 00000000BF48: D1CB0058 05620D08
	v_fma_f32 v89, v9, v6, v89                                 // 00000000BF50: D1CB0059 05660D09
	v_fma_f32 v90, v10, v6, v90                                // 00000000BF58: D1CB005A 056A0D0A
	v_fma_f32 v91, v11, v6, v91                                // 00000000BF60: D1CB005B 056E0D0B
	v_fma_f32 v112, v12, v6, v112                              // 00000000BF68: D1CB0070 05C20D0C
	v_fma_f32 v113, v13, v6, v113                              // 00000000BF70: D1CB0071 05C60D0D
	v_fma_f32 v114, v14, v6, v114                              // 00000000BF78: D1CB0072 05CA0D0E
	v_fma_f32 v115, v15, v6, v115                              // 00000000BF80: D1CB0073 05CE0D0F
	s_waitcnt vmcnt(23)                                        // 00000000BF88: BF8C4F77
	s_barrier                                                  // 00000000BF8C: BF8A0000
	v_mul_f32_dpp v4, v27, v36 row_newbcast:0 row_mask:0xf bank_mask:0xf// 00000000BF90: 0A0848FA FF01501B
	v_mfma_f32_16x16x32_fp8_fp8 v[8:11], a[112:113], a[48:49], 0// 00000000BF98: D3F30008 1A026170
	buffer_load_dword v28, v23, s[32:35], 0 offen              // 00000000BFA0: E0501000 80081C17
	buffer_load_dwordx4 a[96:99], v66, s[84:87], 0 offen       // 00000000BFA8: E05C1000 80956042
	v_mfma_f32_16x16x32_fp8_fp8 v[8:11], a[114:115], a[50:51], v[8:11]// 00000000BFB0: D3F30008 1C226572
	v_mfma_f32_16x16x32_fp8_fp8 v[8:11], a[116:117], a[52:53], v[8:11]// 00000000BFB8: D3F30008 1C226974
	ds_read_b128 a[0:3], v2 offset:12416                       // 00000000BFC0: DBFE3080 00000002
	ds_read_b128 a[4:7], v2 offset:12480                       // 00000000BFC8: DBFE30C0 04000002
	v_mfma_f32_16x16x32_fp8_fp8 v[8:11], a[118:119], a[54:55], v[8:11]// 00000000BFD0: D3F30008 1C226D76
	v_mfma_f32_16x16x32_fp8_fp8 v[12:15], a[120:121], a[48:49], 0// 00000000BFD8: D3F3000C 1A026178
	buffer_load_dwordx4 a[100:103], v66, s[84:87], 0 offen offset:1024// 00000000BFE0: E05C1400 80956442
	v_mfma_f32_16x16x32_fp8_fp8 v[12:15], a[122:123], a[50:51], v[12:15]// 00000000BFE8: D3F3000C 1C32657A
	v_mfma_f32_16x16x32_fp8_fp8 v[12:15], a[124:125], a[52:53], v[12:15]// 00000000BFF0: D3F3000C 1C32697C
	ds_read_b128 a[8:11], v2 offset:12928                      // 00000000BFF8: DBFE3280 08000002
	ds_read_b128 a[12:15], v2 offset:12992                     // 00000000C000: DBFE32C0 0C000002
	v_mfma_f32_16x16x32_fp8_fp8 v[12:15], a[126:127], a[54:55], v[12:15]// 00000000C008: D3F3000C 1C326D7E
	v_fma_f32 v116, v8, v4, v116                               // 00000000C010: D1CB0074 05D20908
	v_fma_f32 v117, v9, v4, v117                               // 00000000C018: D1CB0075 05D60909
	v_fma_f32 v118, v10, v4, v118                              // 00000000C020: D1CB0076 05DA090A
	v_fma_f32 v119, v11, v4, v119                              // 00000000C028: D1CB0077 05DE090B
	v_mul_f32_dpp v6, v27, v37 row_newbcast:0 row_mask:0xf bank_mask:0xf// 00000000C030: 0A0C4AFA FF01501B
	v_mfma_f32_16x16x32_fp8_fp8 v[8:11], a[112:113], a[56:57], 0// 00000000C038: D3F30008 1A027170
	buffer_load_dwordx4 a[104:107], v67, s[84:87], 0 offen     // 00000000C040: E05C1000 80956843
	v_mfma_f32_16x16x32_fp8_fp8 v[8:11], a[114:115], a[58:59], v[8:11]// 00000000C048: D3F30008 1C227572
	v_mfma_f32_16x16x32_fp8_fp8 v[8:11], a[116:117], a[60:61], v[8:11]// 00000000C050: D3F30008 1C227974
	ds_read_b128 a[16:19], v2 offset:13440                     // 00000000C058: DBFE3480 10000002
	ds_read_b128 a[20:23], v2 offset:13504                     // 00000000C060: DBFE34C0 14000002
	v_mfma_f32_16x16x32_fp8_fp8 v[8:11], a[118:119], a[62:63], v[8:11]// 00000000C068: D3F30008 1C227D76
	v_fma_f32 v140, v12, v4, v140                              // 00000000C070: D1CB008C 0632090C
	v_fma_f32 v141, v13, v4, v141                              // 00000000C078: D1CB008D 0636090D
	v_fma_f32 v142, v14, v4, v142                              // 00000000C080: D1CB008E 063A090E
	v_fma_f32 v143, v15, v4, v143                              // 00000000C088: D1CB008F 063E090F
	v_mfma_f32_16x16x32_fp8_fp8 v[12:15], a[120:121], a[56:57], 0// 00000000C090: D3F3000C 1A027178
	buffer_load_dwordx4 a[108:111], v67, s[84:87], 0 offen offset:1024// 00000000C098: E05C1400 80956C43
	v_mfma_f32_16x16x32_fp8_fp8 v[12:15], a[122:123], a[58:59], v[12:15]// 00000000C0A0: D3F3000C 1C32757A
	v_mfma_f32_16x16x32_fp8_fp8 v[12:15], a[124:125], a[60:61], v[12:15]// 00000000C0A8: D3F3000C 1C32797C
	ds_read_b128 a[24:27], v2 offset:13952                     // 00000000C0B0: DBFE3680 18000002
	ds_read_b128 a[28:31], v2 offset:14016                     // 00000000C0B8: DBFE36C0 1C000002
	v_mfma_f32_16x16x32_fp8_fp8 v[12:15], a[126:127], a[62:63], v[12:15]// 00000000C0C0: D3F3000C 1C327D7E
	v_fma_f32 v120, v8, v6, v120                               // 00000000C0C8: D1CB0078 05E20D08
	v_fma_f32 v121, v9, v6, v121                               // 00000000C0D0: D1CB0079 05E60D09
	v_fma_f32 v122, v10, v6, v122                              // 00000000C0D8: D1CB007A 05EA0D0A
	v_fma_f32 v123, v11, v6, v123                              // 00000000C0E0: D1CB007B 05EE0D0B
	v_mul_f32_dpp v4, v27, v38 row_newbcast:0 row_mask:0xf bank_mask:0xf// 00000000C0E8: 0A084CFA FF01501B
	v_mfma_f32_16x16x32_fp8_fp8 v[8:11], a[112:113], a[64:65], 0// 00000000C0F0: D3F30008 1A028170
	v_mfma_f32_16x16x32_fp8_fp8 v[8:11], a[114:115], a[66:67], v[8:11]// 00000000C0F8: D3F30008 1C228572
	v_mfma_f32_16x16x32_fp8_fp8 v[8:11], a[116:117], a[68:69], v[8:11]// 00000000C100: D3F30008 1C228974
	ds_read_b128 a[32:35], v2 offset:14464                     // 00000000C108: DBFE3880 20000002
	ds_read_b128 a[36:39], v2 offset:14528                     // 00000000C110: DBFE38C0 24000002
	v_mfma_f32_16x16x32_fp8_fp8 v[8:11], a[118:119], a[70:71], v[8:11]// 00000000C118: D3F30008 1C228D76
	v_fma_f32 v144, v12, v6, v144                              // 00000000C120: D1CB0090 06420D0C
	v_fma_f32 v145, v13, v6, v145                              // 00000000C128: D1CB0091 06460D0D
	v_fma_f32 v146, v14, v6, v146                              // 00000000C130: D1CB0092 064A0D0E
	v_fma_f32 v147, v15, v6, v147                              // 00000000C138: D1CB0093 064E0D0F
	v_mfma_f32_16x16x32_fp8_fp8 v[12:15], a[120:121], a[64:65], 0// 00000000C140: D3F3000C 1A028178
	v_mfma_f32_16x16x32_fp8_fp8 v[12:15], a[122:123], a[66:67], v[12:15]// 00000000C148: D3F3000C 1C32857A
	v_mfma_f32_16x16x32_fp8_fp8 v[12:15], a[124:125], a[68:69], v[12:15]// 00000000C150: D3F3000C 1C32897C
	ds_read_b128 a[40:43], v2 offset:14976                     // 00000000C158: DBFE3A80 28000002
	ds_read_b128 a[44:47], v2 offset:15040                     // 00000000C160: DBFE3AC0 2C000002
	v_mfma_f32_16x16x32_fp8_fp8 v[12:15], a[126:127], a[70:71], v[12:15]// 00000000C168: D3F3000C 1C328D7E
	v_fma_f32 v124, v8, v4, v124                               // 00000000C170: D1CB007C 05F20908
	v_fma_f32 v125, v9, v4, v125                               // 00000000C178: D1CB007D 05F60909
	v_fma_f32 v126, v10, v4, v126                              // 00000000C180: D1CB007E 05FA090A
	v_fma_f32 v127, v11, v4, v127                              // 00000000C188: D1CB007F 05FE090B
	v_mul_f32_dpp v6, v27, v39 row_newbcast:0 row_mask:0xf bank_mask:0xf// 00000000C190: 0A0C4EFA FF01501B
	v_mfma_f32_16x16x32_fp8_fp8 v[8:11], a[112:113], a[72:73], 0// 00000000C198: D3F30008 1A029170
	v_mfma_f32_16x16x32_fp8_fp8 v[8:11], a[114:115], a[74:75], v[8:11]// 00000000C1A0: D3F30008 1C229572
	v_mfma_f32_16x16x32_fp8_fp8 v[8:11], a[116:117], a[76:77], v[8:11]// 00000000C1A8: D3F30008 1C229974
	v_mfma_f32_16x16x32_fp8_fp8 v[8:11], a[118:119], a[78:79], v[8:11]// 00000000C1B0: D3F30008 1C229D76
	v_fma_f32 v148, v12, v4, v148                              // 00000000C1B8: D1CB0094 0652090C
	v_fma_f32 v149, v13, v4, v149                              // 00000000C1C0: D1CB0095 0656090D
	v_fma_f32 v150, v14, v4, v150                              // 00000000C1C8: D1CB0096 065A090E
	v_fma_f32 v151, v15, v4, v151                              // 00000000C1D0: D1CB0097 065E090F
	v_mfma_f32_16x16x32_fp8_fp8 v[12:15], a[120:121], a[72:73], 0// 00000000C1D8: D3F3000C 1A029178
	v_mfma_f32_16x16x32_fp8_fp8 v[12:15], a[122:123], a[74:75], v[12:15]// 00000000C1E0: D3F3000C 1C32957A
	v_mfma_f32_16x16x32_fp8_fp8 v[12:15], a[124:125], a[76:77], v[12:15]// 00000000C1E8: D3F3000C 1C32997C
	v_mfma_f32_16x16x32_fp8_fp8 v[12:15], a[126:127], a[78:79], v[12:15]// 00000000C1F0: D3F3000C 1C329D7E
	v_fma_f32 v128, v8, v6, v128                               // 00000000C1F8: D1CB0080 06020D08
	v_fma_f32 v129, v9, v6, v129                               // 00000000C200: D1CB0081 06060D09
	v_fma_f32 v130, v10, v6, v130                              // 00000000C208: D1CB0082 060A0D0A
	v_fma_f32 v131, v11, v6, v131                              // 00000000C210: D1CB0083 060E0D0B
	v_mul_f32_dpp v4, v27, v40 row_newbcast:0 row_mask:0xf bank_mask:0xf// 00000000C218: 0A0850FA FF01501B
	v_mfma_f32_16x16x32_fp8_fp8 v[8:11], a[112:113], a[80:81], 0// 00000000C220: D3F30008 1A02A170
	v_mfma_f32_16x16x32_fp8_fp8 v[8:11], a[114:115], a[82:83], v[8:11]// 00000000C228: D3F30008 1C22A572
	v_mfma_f32_16x16x32_fp8_fp8 v[8:11], a[116:117], a[84:85], v[8:11]// 00000000C230: D3F30008 1C22A974
	v_mfma_f32_16x16x32_fp8_fp8 v[8:11], a[118:119], a[86:87], v[8:11]// 00000000C238: D3F30008 1C22AD76
	v_fma_f32 v152, v12, v6, v152                              // 00000000C240: D1CB0098 06620D0C
	v_fma_f32 v153, v13, v6, v153                              // 00000000C248: D1CB0099 06660D0D
	v_fma_f32 v154, v14, v6, v154                              // 00000000C250: D1CB009A 066A0D0E
	v_fma_f32 v155, v15, v6, v155                              // 00000000C258: D1CB009B 066E0D0F
	v_mfma_f32_16x16x32_fp8_fp8 v[12:15], a[120:121], a[80:81], 0// 00000000C260: D3F3000C 1A02A178
	v_mfma_f32_16x16x32_fp8_fp8 v[12:15], a[122:123], a[82:83], v[12:15]// 00000000C268: D3F3000C 1C32A57A
	v_mfma_f32_16x16x32_fp8_fp8 v[12:15], a[124:125], a[84:85], v[12:15]// 00000000C270: D3F3000C 1C32A97C
	v_mfma_f32_16x16x32_fp8_fp8 v[12:15], a[126:127], a[86:87], v[12:15]// 00000000C278: D3F3000C 1C32AD7E
	v_fma_f32 v132, v8, v4, v132                               // 00000000C280: D1CB0084 06120908
	v_fma_f32 v133, v9, v4, v133                               // 00000000C288: D1CB0085 06160909
	v_fma_f32 v134, v10, v4, v134                              // 00000000C290: D1CB0086 061A090A
	v_fma_f32 v135, v11, v4, v135                              // 00000000C298: D1CB0087 061E090B
	v_mul_f32_dpp v6, v27, v41 row_newbcast:0 row_mask:0xf bank_mask:0xf// 00000000C2A0: 0A0C52FA FF01501B
	v_mfma_f32_16x16x32_fp8_fp8 v[8:11], a[112:113], a[88:89], 0// 00000000C2A8: D3F30008 1A02B170
	s_add_u32 s60, 0x180, s80                                  // 00000000C2B0: 803C50FF 00000180
	s_cmp_lt_u32 s60, s81                                      // 00000000C2B8: BF0A513C
	s_cselect_b32 s57, s57, 0                                  // 00000000C2BC: 85398039
	s_cselect_b32 s3, s3, 0                                    // 00000000C2C0: 85038003
	v_mfma_f32_16x16x32_fp8_fp8 v[8:11], a[114:115], a[90:91], v[8:11]// 00000000C2C4: D3F30008 1C22B572
	s_add_u32 s60, 0x100, s80                                  // 00000000C2CC: 803C50FF 00000100
	s_cmp_lt_u32 s60, s81                                      // 00000000C2D4: BF0A513C
	s_cselect_b32 s58, s58, 0                                  // 00000000C2D8: 853A803A
	v_mfma_f32_16x16x32_fp8_fp8 v[8:11], a[116:117], a[92:93], v[8:11]// 00000000C2DC: D3F30008 1C22B974
	s_add_u32 s60, 0x100, s80                                  // 00000000C2E4: 803C50FF 00000100
	s_cmp_lt_u32 s60, s81                                      // 00000000C2EC: BF0A513C
	s_cselect_b32 s83, s83, 0                                  // 00000000C2F0: 85538053
	s_cselect_b32 s4, s4, 0                                    // 00000000C2F4: 85048004
	v_mfma_f32_16x16x32_fp8_fp8 v[8:11], a[118:119], a[94:95], v[8:11]// 00000000C2F8: D3F30008 1C22BD76
	s_add_u32 s24, s58, s24                                    // 00000000C300: 8018183A
	s_addc_u32 s25, 0, s25                                     // 00000000C304: 82191980
	v_fma_f32 v156, v12, v4, v156                              // 00000000C308: D1CB009C 0672090C
	v_fma_f32 v157, v13, v4, v157                              // 00000000C310: D1CB009D 0676090D
	v_fma_f32 v158, v14, v4, v158                              // 00000000C318: D1CB009E 067A090E
	v_fma_f32 v159, v15, v4, v159                              // 00000000C320: D1CB009F 067E090F
	v_mfma_f32_16x16x32_fp8_fp8 v[12:15], a[120:121], a[88:89], 0// 00000000C328: D3F3000C 1A02B178
	s_add_u32 s20, s57, s20                                    // 00000000C330: 80141439
	s_addc_u32 s21, 0, s21                                     // 00000000C334: 82151580
	s_add_u32 s28, s3, s28                                     // 00000000C338: 801C1C03
	s_addc_u32 s29, 0, s29                                     // 00000000C33C: 821D1D80
	v_mfma_f32_16x16x32_fp8_fp8 v[12:15], a[122:123], a[90:91], v[12:15]// 00000000C340: D3F3000C 1C32B57A
	s_add_u32 s84, s83, s84                                    // 00000000C348: 80545453
	s_addc_u32 s85, 0, s85                                     // 00000000C34C: 82555580
	v_mfma_f32_16x16x32_fp8_fp8 v[12:15], a[124:125], a[92:93], v[12:15]// 00000000C350: D3F3000C 1C32B97C
	s_add_u32 s32, s4, s32                                     // 00000000C358: 80202004
	s_addc_u32 s33, 0, s33                                     // 00000000C35C: 82212180
	v_mfma_f32_16x16x32_fp8_fp8 v[12:15], a[126:127], a[94:95], v[12:15]// 00000000C360: D3F3000C 1C32BD7E
	v_fma_f32 v136, v8, v6, v136                               // 00000000C368: D1CB0088 06220D08
	v_fma_f32 v137, v9, v6, v137                               // 00000000C370: D1CB0089 06260D09
	v_fma_f32 v138, v10, v6, v138                              // 00000000C378: D1CB008A 062A0D0A
	v_fma_f32 v139, v11, v6, v139                              // 00000000C380: D1CB008B 062E0D0B
	v_fma_f32 v160, v12, v6, v160                              // 00000000C388: D1CB00A0 06820D0C
	v_fma_f32 v161, v13, v6, v161                              // 00000000C390: D1CB00A1 06860D0D
	v_fma_f32 v162, v14, v6, v162                              // 00000000C398: D1CB00A2 068A0D0E
	v_fma_f32 v163, v15, v6, v163                              // 00000000C3A0: D1CB00A3 068E0D0F
	s_addk_i32 s80, 0x80                                       // 00000000C3A8: B7500080
	s_cmp_lt_i32 s80, s81                                      // 00000000C3AC: BF045150
	s_cbranch_scc0 label_2AAB                                  // 00000000C3B0: BF84043B
	s_waitcnt vmcnt(23) lgkmcnt(0)                             // 00000000C3B4: BF8C4077
	v_mul_f32_dpp v4, v25, v42 row_newbcast:0 row_mask:0xf bank_mask:0xf// 00000000C3B8: 0A0854FA FF015019
	v_mfma_f32_16x16x32_fp8_fp8 v[8:11], a[128:129], a[0:1], 0 // 00000000C3C0: D3F30008 1A020180
	buffer_load_dword v26, v22, s[32:35], 0 offen              // 00000000C3C8: E0501000 80081A16
	buffer_load_dwordx4 a[112:115], v66, s[24:27], 0 offen     // 00000000C3D0: E05C1000 80867042
	v_mfma_f32_16x16x32_fp8_fp8 v[8:11], a[130:131], a[2:3], v[8:11]// 00000000C3D8: D3F30008 1C220582
	v_mfma_f32_16x16x32_fp8_fp8 v[8:11], a[132:133], a[4:5], v[8:11]// 00000000C3E0: D3F30008 1C220984
	v_mfma_f32_16x16x32_fp8_fp8 v[8:11], a[134:135], a[6:7], v[8:11]// 00000000C3E8: D3F30008 1C220D86
	v_mfma_f32_16x16x32_fp8_fp8 v[12:15], a[136:137], a[0:1], 0// 00000000C3F0: D3F3000C 1A020188
	buffer_load_dwordx4 a[116:119], v66, s[24:27], 0 offen offset:1024// 00000000C3F8: E05C1400 80867442
	v_mfma_f32_16x16x32_fp8_fp8 v[12:15], a[138:139], a[2:3], v[12:15]// 00000000C400: D3F3000C 1C32058A
	v_mfma_f32_16x16x32_fp8_fp8 v[12:15], a[140:141], a[4:5], v[12:15]// 00000000C408: D3F3000C 1C32098C
	v_mfma_f32_16x16x32_fp8_fp8 v[12:15], a[142:143], a[6:7], v[12:15]// 00000000C410: D3F3000C 1C320D8E
	v_fma_f32 v68, v8, v4, v68                                 // 00000000C418: D1CB0044 05120908
	v_fma_f32 v69, v9, v4, v69                                 // 00000000C420: D1CB0045 05160909
	v_fma_f32 v70, v10, v4, v70                                // 00000000C428: D1CB0046 051A090A
	v_fma_f32 v71, v11, v4, v71                                // 00000000C430: D1CB0047 051E090B
	v_mul_f32_dpp v6, v25, v43 row_newbcast:0 row_mask:0xf bank_mask:0xf// 00000000C438: 0A0C56FA FF015019
	v_mfma_f32_16x16x32_fp8_fp8 v[8:11], a[128:129], a[8:9], 0 // 00000000C440: D3F30008 1A021180
	buffer_load_dwordx4 a[120:123], v67, s[24:27], 0 offen     // 00000000C448: E05C1000 80867843
	v_mfma_f32_16x16x32_fp8_fp8 v[8:11], a[130:131], a[10:11], v[8:11]// 00000000C450: D3F30008 1C221582
	v_mfma_f32_16x16x32_fp8_fp8 v[8:11], a[132:133], a[12:13], v[8:11]// 00000000C458: D3F30008 1C221984
	v_mfma_f32_16x16x32_fp8_fp8 v[8:11], a[134:135], a[14:15], v[8:11]// 00000000C460: D3F30008 1C221D86
	v_fma_f32 v92, v12, v4, v92                                // 00000000C468: D1CB005C 0572090C
	v_fma_f32 v93, v13, v4, v93                                // 00000000C470: D1CB005D 0576090D
	v_fma_f32 v94, v14, v4, v94                                // 00000000C478: D1CB005E 057A090E
	v_fma_f32 v95, v15, v4, v95                                // 00000000C480: D1CB005F 057E090F
	v_mfma_f32_16x16x32_fp8_fp8 v[12:15], a[136:137], a[8:9], 0// 00000000C488: D3F3000C 1A021188
	buffer_load_dwordx4 a[124:127], v67, s[24:27], 0 offen offset:1024// 00000000C490: E05C1400 80867C43
	buffer_load_dword v54, s[20:23], 0 offen lds               // 00000000C498: E0511000 80050036
	s_add_u32 m0, 0x100, s48                                   // 00000000C4A0: 807C30FF 00000100
	v_mfma_f32_16x16x32_fp8_fp8 v[12:15], a[138:139], a[10:11], v[12:15]// 00000000C4A8: D3F3000C 1C32158A
	v_mfma_f32_16x16x32_fp8_fp8 v[12:15], a[140:141], a[12:13], v[12:15]// 00000000C4B0: D3F3000C 1C32198C
	buffer_load_dword v55, s[20:23], 0 offen lds               // 00000000C4B8: E0511000 80050037
	s_add_u32 m0, 0x200, s48                                   // 00000000C4C0: 807C30FF 00000200
	v_mfma_f32_16x16x32_fp8_fp8 v[12:15], a[142:143], a[14:15], v[12:15]// 00000000C4C8: D3F3000C 1C321D8E
	v_fma_f32 v72, v8, v6, v72                                 // 00000000C4D0: D1CB0048 05220D08
	v_fma_f32 v73, v9, v6, v73                                 // 00000000C4D8: D1CB0049 05260D09
	v_fma_f32 v74, v10, v6, v74                                // 00000000C4E0: D1CB004A 052A0D0A
	v_fma_f32 v75, v11, v6, v75                                // 00000000C4E8: D1CB004B 052E0D0B
	v_mul_f32_dpp v4, v25, v44 row_newbcast:0 row_mask:0xf bank_mask:0xf// 00000000C4F0: 0A0858FA FF015019
	v_mfma_f32_16x16x32_fp8_fp8 v[8:11], a[128:129], a[16:17], 0// 00000000C4F8: D3F30008 1A022180
	buffer_load_dword v56, s[20:23], 0 offen lds               // 00000000C500: E0511000 80050038
	s_add_u32 m0, 0x300, s48                                   // 00000000C508: 807C30FF 00000300
	v_mfma_f32_16x16x32_fp8_fp8 v[8:11], a[130:131], a[18:19], v[8:11]// 00000000C510: D3F30008 1C222582
	v_mfma_f32_16x16x32_fp8_fp8 v[8:11], a[132:133], a[20:21], v[8:11]// 00000000C518: D3F30008 1C222984
	buffer_load_dword v57, s[20:23], 0 offen lds               // 00000000C520: E0511000 80050039
	s_add_u32 m0, 0x400, s48                                   // 00000000C528: 807C30FF 00000400
	v_mfma_f32_16x16x32_fp8_fp8 v[8:11], a[134:135], a[22:23], v[8:11]// 00000000C530: D3F30008 1C222D86
	v_fma_f32 v96, v12, v6, v96                                // 00000000C538: D1CB0060 05820D0C
	v_fma_f32 v97, v13, v6, v97                                // 00000000C540: D1CB0061 05860D0D
	v_fma_f32 v98, v14, v6, v98                                // 00000000C548: D1CB0062 058A0D0E
	v_fma_f32 v99, v15, v6, v99                                // 00000000C550: D1CB0063 058E0D0F
	v_mfma_f32_16x16x32_fp8_fp8 v[12:15], a[136:137], a[16:17], 0// 00000000C558: D3F3000C 1A022188
	buffer_load_dword v58, s[20:23], 0 offen lds               // 00000000C560: E0511000 8005003A
	s_add_u32 m0, 0x500, s48                                   // 00000000C568: 807C30FF 00000500
	v_mfma_f32_16x16x32_fp8_fp8 v[12:15], a[138:139], a[18:19], v[12:15]// 00000000C570: D3F3000C 1C32258A
	v_mfma_f32_16x16x32_fp8_fp8 v[12:15], a[140:141], a[20:21], v[12:15]// 00000000C578: D3F3000C 1C32298C
	buffer_load_dword v59, s[20:23], 0 offen lds               // 00000000C580: E0511000 8005003B
	s_add_u32 m0, 0x600, s48                                   // 00000000C588: 807C30FF 00000600
	v_mfma_f32_16x16x32_fp8_fp8 v[12:15], a[142:143], a[22:23], v[12:15]// 00000000C590: D3F3000C 1C322D8E
	v_fma_f32 v76, v8, v4, v76                                 // 00000000C598: D1CB004C 05320908
	v_fma_f32 v77, v9, v4, v77                                 // 00000000C5A0: D1CB004D 05360909
	v_fma_f32 v78, v10, v4, v78                                // 00000000C5A8: D1CB004E 053A090A
	v_fma_f32 v79, v11, v4, v79                                // 00000000C5B0: D1CB004F 053E090B
	v_mul_f32_dpp v6, v25, v45 row_newbcast:0 row_mask:0xf bank_mask:0xf// 00000000C5B8: 0A0C5AFA FF015019
	v_mfma_f32_16x16x32_fp8_fp8 v[8:11], a[128:129], a[24:25], 0// 00000000C5C0: D3F30008 1A023180
	buffer_load_dword v60, s[20:23], 0 offen lds               // 00000000C5C8: E0511000 8005003C
	s_add_u32 m0, 0x700, s48                                   // 00000000C5D0: 807C30FF 00000700
	v_mfma_f32_16x16x32_fp8_fp8 v[8:11], a[130:131], a[26:27], v[8:11]// 00000000C5D8: D3F30008 1C223582
	v_mfma_f32_16x16x32_fp8_fp8 v[8:11], a[132:133], a[28:29], v[8:11]// 00000000C5E0: D3F30008 1C223984
	buffer_load_dword v61, s[20:23], 0 offen lds               // 00000000C5E8: E0511000 8005003D
	s_add_u32 m0, 0x800, s48                                   // 00000000C5F0: 807C30FF 00000800
	v_mfma_f32_16x16x32_fp8_fp8 v[8:11], a[134:135], a[30:31], v[8:11]// 00000000C5F8: D3F30008 1C223D86
	v_fma_f32 v100, v12, v4, v100                              // 00000000C600: D1CB0064 0592090C
	v_fma_f32 v101, v13, v4, v101                              // 00000000C608: D1CB0065 0596090D
	v_fma_f32 v102, v14, v4, v102                              // 00000000C610: D1CB0066 059A090E
	v_fma_f32 v103, v15, v4, v103                              // 00000000C618: D1CB0067 059E090F
	v_mfma_f32_16x16x32_fp8_fp8 v[12:15], a[136:137], a[24:25], 0// 00000000C620: D3F3000C 1A023188
	buffer_load_dword v62, s[20:23], 0 offen lds               // 00000000C628: E0511000 8005003E
	s_add_u32 m0, 0x900, s48                                   // 00000000C630: 807C30FF 00000900
	v_mfma_f32_16x16x32_fp8_fp8 v[12:15], a[138:139], a[26:27], v[12:15]// 00000000C638: D3F3000C 1C32358A
	v_mfma_f32_16x16x32_fp8_fp8 v[12:15], a[140:141], a[28:29], v[12:15]// 00000000C640: D3F3000C 1C32398C
	buffer_load_dword v63, s[20:23], 0 offen lds               // 00000000C648: E0511000 8005003F
	s_add_u32 m0, 0xa00, s48                                   // 00000000C650: 807C30FF 00000A00
	v_mfma_f32_16x16x32_fp8_fp8 v[12:15], a[142:143], a[30:31], v[12:15]// 00000000C658: D3F3000C 1C323D8E
	v_fma_f32 v80, v8, v6, v80                                 // 00000000C660: D1CB0050 05420D08
	v_fma_f32 v81, v9, v6, v81                                 // 00000000C668: D1CB0051 05460D09
	v_fma_f32 v82, v10, v6, v82                                // 00000000C670: D1CB0052 054A0D0A
	v_fma_f32 v83, v11, v6, v83                                // 00000000C678: D1CB0053 054E0D0B
	v_mul_f32_dpp v4, v25, v46 row_newbcast:0 row_mask:0xf bank_mask:0xf// 00000000C680: 0A085CFA FF015019
	v_mfma_f32_16x16x32_fp8_fp8 v[8:11], a[128:129], a[32:33], 0// 00000000C688: D3F30008 1A024180
	buffer_load_dword v64, s[20:23], 0 offen lds               // 00000000C690: E0511000 80050040
	s_add_u32 m0, 0xb00, s48                                   // 00000000C698: 807C30FF 00000B00
	v_mfma_f32_16x16x32_fp8_fp8 v[8:11], a[130:131], a[34:35], v[8:11]// 00000000C6A0: D3F30008 1C224582
	v_mfma_f32_16x16x32_fp8_fp8 v[8:11], a[132:133], a[36:37], v[8:11]// 00000000C6A8: D3F30008 1C224984
	buffer_load_dword v65, s[20:23], 0 offen lds               // 00000000C6B0: E0511000 80050041
	s_add_u32 m0, 0, s49                                       // 00000000C6B8: 807C3180
	v_mfma_f32_16x16x32_fp8_fp8 v[8:11], a[134:135], a[38:39], v[8:11]// 00000000C6BC: D3F30008 1C224D86
	v_fma_f32 v104, v12, v6, v104                              // 00000000C6C4: D1CB0068 05A20D0C
	v_fma_f32 v105, v13, v6, v105                              // 00000000C6CC: D1CB0069 05A60D0D
	v_fma_f32 v106, v14, v6, v106                              // 00000000C6D4: D1CB006A 05AA0D0E
	v_fma_f32 v107, v15, v6, v107                              // 00000000C6DC: D1CB006B 05AE0D0F
	v_mfma_f32_16x16x32_fp8_fp8 v[12:15], a[136:137], a[32:33], 0// 00000000C6E4: D3F3000C 1A024188
	buffer_load_dword v36, v30, s[28:31], 0 offen              // 00000000C6EC: E0501000 8007241E
	v_mfma_f32_16x16x32_fp8_fp8 v[12:15], a[138:139], a[34:35], v[12:15]// 00000000C6F4: D3F3000C 1C32458A
	v_mfma_f32_16x16x32_fp8_fp8 v[12:15], a[140:141], a[36:37], v[12:15]// 00000000C6FC: D3F3000C 1C32498C
	buffer_load_dword v37, v31, s[28:31], 0 offen              // 00000000C704: E0501000 8007251F
	v_mfma_f32_16x16x32_fp8_fp8 v[12:15], a[142:143], a[38:39], v[12:15]// 00000000C70C: D3F3000C 1C324D8E
	v_fma_f32 v84, v8, v4, v84                                 // 00000000C714: D1CB0054 05520908
	v_fma_f32 v85, v9, v4, v85                                 // 00000000C71C: D1CB0055 05560909
	v_fma_f32 v86, v10, v4, v86                                // 00000000C724: D1CB0056 055A090A
	v_fma_f32 v87, v11, v4, v87                                // 00000000C72C: D1CB0057 055E090B
	v_mul_f32_dpp v6, v25, v47 row_newbcast:0 row_mask:0xf bank_mask:0xf// 00000000C734: 0A0C5EFA FF015019
	v_mfma_f32_16x16x32_fp8_fp8 v[8:11], a[128:129], a[40:41], 0// 00000000C73C: D3F30008 1A025180
	buffer_load_dword v38, v32, s[28:31], 0 offen              // 00000000C744: E0501000 80072620
	v_mfma_f32_16x16x32_fp8_fp8 v[8:11], a[130:131], a[42:43], v[8:11]// 00000000C74C: D3F30008 1C225582
	v_mfma_f32_16x16x32_fp8_fp8 v[8:11], a[132:133], a[44:45], v[8:11]// 00000000C754: D3F30008 1C225984
	buffer_load_dword v39, v33, s[28:31], 0 offen              // 00000000C75C: E0501000 80072721
	v_mfma_f32_16x16x32_fp8_fp8 v[8:11], a[134:135], a[46:47], v[8:11]// 00000000C764: D3F30008 1C225D86
	v_fma_f32 v108, v12, v4, v108                              // 00000000C76C: D1CB006C 05B2090C
	v_fma_f32 v109, v13, v4, v109                              // 00000000C774: D1CB006D 05B6090D
	v_fma_f32 v110, v14, v4, v110                              // 00000000C77C: D1CB006E 05BA090E
	v_fma_f32 v111, v15, v4, v111                              // 00000000C784: D1CB006F 05BE090F
	v_mfma_f32_16x16x32_fp8_fp8 v[12:15], a[136:137], a[40:41], 0// 00000000C78C: D3F3000C 1A025188
	buffer_load_dword v40, v34, s[28:31], 0 offen              // 00000000C794: E0501000 80072822
	v_mfma_f32_16x16x32_fp8_fp8 v[12:15], a[138:139], a[42:43], v[12:15]// 00000000C79C: D3F3000C 1C32558A
	v_mfma_f32_16x16x32_fp8_fp8 v[12:15], a[140:141], a[44:45], v[12:15]// 00000000C7A4: D3F3000C 1C32598C
	buffer_load_dword v41, v35, s[28:31], 0 offen              // 00000000C7AC: E0501000 80072923
	v_mfma_f32_16x16x32_fp8_fp8 v[12:15], a[142:143], a[46:47], v[12:15]// 00000000C7B4: D3F3000C 1C325D8E
	v_fma_f32 v88, v8, v6, v88                                 // 00000000C7BC: D1CB0058 05620D08
	v_fma_f32 v89, v9, v6, v89                                 // 00000000C7C4: D1CB0059 05660D09
	v_fma_f32 v90, v10, v6, v90                                // 00000000C7CC: D1CB005A 056A0D0A
	v_fma_f32 v91, v11, v6, v91                                // 00000000C7D4: D1CB005B 056E0D0B
	v_fma_f32 v112, v12, v6, v112                              // 00000000C7DC: D1CB0070 05C20D0C
	v_fma_f32 v113, v13, v6, v113                              // 00000000C7E4: D1CB0071 05C60D0D
	v_fma_f32 v114, v14, v6, v114                              // 00000000C7EC: D1CB0072 05CA0D0E
	v_fma_f32 v115, v15, v6, v115                              // 00000000C7F4: D1CB0073 05CE0D0F
	s_waitcnt vmcnt(23)                                        // 00000000C7FC: BF8C4F77
	s_barrier                                                  // 00000000C800: BF8A0000
	v_mul_f32_dpp v4, v28, v42 row_newbcast:0 row_mask:0xf bank_mask:0xf// 00000000C804: 0A0854FA FF01501C
	v_mfma_f32_16x16x32_fp8_fp8 v[8:11], a[96:97], a[0:1], 0   // 00000000C80C: D3F30008 1A020160
	buffer_load_dword v29, v23, s[32:35], 0 offen              // 00000000C814: E0501000 80081D17
	buffer_load_dwordx4 a[128:131], v66, s[84:87], 0 offen     // 00000000C81C: E05C1000 80958042
	v_mfma_f32_16x16x32_fp8_fp8 v[8:11], a[98:99], a[2:3], v[8:11]// 00000000C824: D3F30008 1C220562
	v_mfma_f32_16x16x32_fp8_fp8 v[8:11], a[100:101], a[4:5], v[8:11]// 00000000C82C: D3F30008 1C220964
	ds_read_b128 a[48:51], v2 offset:24832                     // 00000000C834: DBFE6100 30000002
	ds_read_b128 a[52:55], v2 offset:24896                     // 00000000C83C: DBFE6140 34000002
	v_mfma_f32_16x16x32_fp8_fp8 v[8:11], a[102:103], a[6:7], v[8:11]// 00000000C844: D3F30008 1C220D66
	v_mfma_f32_16x16x32_fp8_fp8 v[12:15], a[104:105], a[0:1], 0// 00000000C84C: D3F3000C 1A020168
	buffer_load_dwordx4 a[132:135], v66, s[84:87], 0 offen offset:1024// 00000000C854: E05C1400 80958442
	v_mfma_f32_16x16x32_fp8_fp8 v[12:15], a[106:107], a[2:3], v[12:15]// 00000000C85C: D3F3000C 1C32056A
	v_mfma_f32_16x16x32_fp8_fp8 v[12:15], a[108:109], a[4:5], v[12:15]// 00000000C864: D3F3000C 1C32096C
	ds_read_b128 a[56:59], v2 offset:25344                     // 00000000C86C: DBFE6300 38000002
	ds_read_b128 a[60:63], v2 offset:25408                     // 00000000C874: DBFE6340 3C000002
	v_mfma_f32_16x16x32_fp8_fp8 v[12:15], a[110:111], a[6:7], v[12:15]// 00000000C87C: D3F3000C 1C320D6E
	v_fma_f32 v116, v8, v4, v116                               // 00000000C884: D1CB0074 05D20908
	v_fma_f32 v117, v9, v4, v117                               // 00000000C88C: D1CB0075 05D60909
	v_fma_f32 v118, v10, v4, v118                              // 00000000C894: D1CB0076 05DA090A
	v_fma_f32 v119, v11, v4, v119                              // 00000000C89C: D1CB0077 05DE090B
	v_mul_f32_dpp v6, v28, v43 row_newbcast:0 row_mask:0xf bank_mask:0xf// 00000000C8A4: 0A0C56FA FF01501C
	v_mfma_f32_16x16x32_fp8_fp8 v[8:11], a[96:97], a[8:9], 0   // 00000000C8AC: D3F30008 1A021160
	buffer_load_dwordx4 a[136:139], v67, s[84:87], 0 offen     // 00000000C8B4: E05C1000 80958843
	v_mfma_f32_16x16x32_fp8_fp8 v[8:11], a[98:99], a[10:11], v[8:11]// 00000000C8BC: D3F30008 1C221562
	v_mfma_f32_16x16x32_fp8_fp8 v[8:11], a[100:101], a[12:13], v[8:11]// 00000000C8C4: D3F30008 1C221964
	ds_read_b128 a[64:67], v2 offset:25856                     // 00000000C8CC: DBFE6500 40000002
	ds_read_b128 a[68:71], v2 offset:25920                     // 00000000C8D4: DBFE6540 44000002
	v_mfma_f32_16x16x32_fp8_fp8 v[8:11], a[102:103], a[14:15], v[8:11]// 00000000C8DC: D3F30008 1C221D66
	v_fma_f32 v140, v12, v4, v140                              // 00000000C8E4: D1CB008C 0632090C
	v_fma_f32 v141, v13, v4, v141                              // 00000000C8EC: D1CB008D 0636090D
	v_fma_f32 v142, v14, v4, v142                              // 00000000C8F4: D1CB008E 063A090E
	v_fma_f32 v143, v15, v4, v143                              // 00000000C8FC: D1CB008F 063E090F
	v_mfma_f32_16x16x32_fp8_fp8 v[12:15], a[104:105], a[8:9], 0// 00000000C904: D3F3000C 1A021168
	buffer_load_dwordx4 a[140:143], v67, s[84:87], 0 offen offset:1024// 00000000C90C: E05C1400 80958C43
	v_mfma_f32_16x16x32_fp8_fp8 v[12:15], a[106:107], a[10:11], v[12:15]// 00000000C914: D3F3000C 1C32156A
	v_mfma_f32_16x16x32_fp8_fp8 v[12:15], a[108:109], a[12:13], v[12:15]// 00000000C91C: D3F3000C 1C32196C
	ds_read_b128 a[72:75], v2 offset:26368                     // 00000000C924: DBFE6700 48000002
	ds_read_b128 a[76:79], v2 offset:26432                     // 00000000C92C: DBFE6740 4C000002
	v_mfma_f32_16x16x32_fp8_fp8 v[12:15], a[110:111], a[14:15], v[12:15]// 00000000C934: D3F3000C 1C321D6E
	v_fma_f32 v120, v8, v6, v120                               // 00000000C93C: D1CB0078 05E20D08
	v_fma_f32 v121, v9, v6, v121                               // 00000000C944: D1CB0079 05E60D09
	v_fma_f32 v122, v10, v6, v122                              // 00000000C94C: D1CB007A 05EA0D0A
	v_fma_f32 v123, v11, v6, v123                              // 00000000C954: D1CB007B 05EE0D0B
	v_mul_f32_dpp v4, v28, v44 row_newbcast:0 row_mask:0xf bank_mask:0xf// 00000000C95C: 0A0858FA FF01501C
	v_mfma_f32_16x16x32_fp8_fp8 v[8:11], a[96:97], a[16:17], 0 // 00000000C964: D3F30008 1A022160
	v_mfma_f32_16x16x32_fp8_fp8 v[8:11], a[98:99], a[18:19], v[8:11]// 00000000C96C: D3F30008 1C222562
	v_mfma_f32_16x16x32_fp8_fp8 v[8:11], a[100:101], a[20:21], v[8:11]// 00000000C974: D3F30008 1C222964
	ds_read_b128 a[80:83], v2 offset:26880                     // 00000000C97C: DBFE6900 50000002
	ds_read_b128 a[84:87], v2 offset:26944                     // 00000000C984: DBFE6940 54000002
	v_mfma_f32_16x16x32_fp8_fp8 v[8:11], a[102:103], a[22:23], v[8:11]// 00000000C98C: D3F30008 1C222D66
	v_fma_f32 v144, v12, v6, v144                              // 00000000C994: D1CB0090 06420D0C
	v_fma_f32 v145, v13, v6, v145                              // 00000000C99C: D1CB0091 06460D0D
	v_fma_f32 v146, v14, v6, v146                              // 00000000C9A4: D1CB0092 064A0D0E
	v_fma_f32 v147, v15, v6, v147                              // 00000000C9AC: D1CB0093 064E0D0F
	v_mfma_f32_16x16x32_fp8_fp8 v[12:15], a[104:105], a[16:17], 0// 00000000C9B4: D3F3000C 1A022168
	v_mfma_f32_16x16x32_fp8_fp8 v[12:15], a[106:107], a[18:19], v[12:15]// 00000000C9BC: D3F3000C 1C32256A
	v_mfma_f32_16x16x32_fp8_fp8 v[12:15], a[108:109], a[20:21], v[12:15]// 00000000C9C4: D3F3000C 1C32296C
	ds_read_b128 a[88:91], v2 offset:27392                     // 00000000C9CC: DBFE6B00 58000002
	ds_read_b128 a[92:95], v2 offset:27456                     // 00000000C9D4: DBFE6B40 5C000002
	v_mfma_f32_16x16x32_fp8_fp8 v[12:15], a[110:111], a[22:23], v[12:15]// 00000000C9DC: D3F3000C 1C322D6E
	v_fma_f32 v124, v8, v4, v124                               // 00000000C9E4: D1CB007C 05F20908
	v_fma_f32 v125, v9, v4, v125                               // 00000000C9EC: D1CB007D 05F60909
	v_fma_f32 v126, v10, v4, v126                              // 00000000C9F4: D1CB007E 05FA090A
	v_fma_f32 v127, v11, v4, v127                              // 00000000C9FC: D1CB007F 05FE090B
	v_mul_f32_dpp v6, v28, v45 row_newbcast:0 row_mask:0xf bank_mask:0xf// 00000000CA04: 0A0C5AFA FF01501C
	v_mfma_f32_16x16x32_fp8_fp8 v[8:11], a[96:97], a[24:25], 0 // 00000000CA0C: D3F30008 1A023160
	v_mfma_f32_16x16x32_fp8_fp8 v[8:11], a[98:99], a[26:27], v[8:11]// 00000000CA14: D3F30008 1C223562
	v_mfma_f32_16x16x32_fp8_fp8 v[8:11], a[100:101], a[28:29], v[8:11]// 00000000CA1C: D3F30008 1C223964
	v_mfma_f32_16x16x32_fp8_fp8 v[8:11], a[102:103], a[30:31], v[8:11]// 00000000CA24: D3F30008 1C223D66
	v_fma_f32 v148, v12, v4, v148                              // 00000000CA2C: D1CB0094 0652090C
	v_fma_f32 v149, v13, v4, v149                              // 00000000CA34: D1CB0095 0656090D
	v_fma_f32 v150, v14, v4, v150                              // 00000000CA3C: D1CB0096 065A090E
	v_fma_f32 v151, v15, v4, v151                              // 00000000CA44: D1CB0097 065E090F
	v_mfma_f32_16x16x32_fp8_fp8 v[12:15], a[104:105], a[24:25], 0// 00000000CA4C: D3F3000C 1A023168
	v_mfma_f32_16x16x32_fp8_fp8 v[12:15], a[106:107], a[26:27], v[12:15]// 00000000CA54: D3F3000C 1C32356A
	v_mfma_f32_16x16x32_fp8_fp8 v[12:15], a[108:109], a[28:29], v[12:15]// 00000000CA5C: D3F3000C 1C32396C
	v_mfma_f32_16x16x32_fp8_fp8 v[12:15], a[110:111], a[30:31], v[12:15]// 00000000CA64: D3F3000C 1C323D6E
	v_fma_f32 v128, v8, v6, v128                               // 00000000CA6C: D1CB0080 06020D08
	v_fma_f32 v129, v9, v6, v129                               // 00000000CA74: D1CB0081 06060D09
	v_fma_f32 v130, v10, v6, v130                              // 00000000CA7C: D1CB0082 060A0D0A
	v_fma_f32 v131, v11, v6, v131                              // 00000000CA84: D1CB0083 060E0D0B
	v_mul_f32_dpp v4, v28, v46 row_newbcast:0 row_mask:0xf bank_mask:0xf// 00000000CA8C: 0A085CFA FF01501C
	v_mfma_f32_16x16x32_fp8_fp8 v[8:11], a[96:97], a[32:33], 0 // 00000000CA94: D3F30008 1A024160
	v_mfma_f32_16x16x32_fp8_fp8 v[8:11], a[98:99], a[34:35], v[8:11]// 00000000CA9C: D3F30008 1C224562
	v_mfma_f32_16x16x32_fp8_fp8 v[8:11], a[100:101], a[36:37], v[8:11]// 00000000CAA4: D3F30008 1C224964
	v_mfma_f32_16x16x32_fp8_fp8 v[8:11], a[102:103], a[38:39], v[8:11]// 00000000CAAC: D3F30008 1C224D66
	v_fma_f32 v152, v12, v6, v152                              // 00000000CAB4: D1CB0098 06620D0C
	v_fma_f32 v153, v13, v6, v153                              // 00000000CABC: D1CB0099 06660D0D
	v_fma_f32 v154, v14, v6, v154                              // 00000000CAC4: D1CB009A 066A0D0E
	v_fma_f32 v155, v15, v6, v155                              // 00000000CACC: D1CB009B 066E0D0F
	v_mfma_f32_16x16x32_fp8_fp8 v[12:15], a[104:105], a[32:33], 0// 00000000CAD4: D3F3000C 1A024168
	v_mfma_f32_16x16x32_fp8_fp8 v[12:15], a[106:107], a[34:35], v[12:15]// 00000000CADC: D3F3000C 1C32456A
	v_mfma_f32_16x16x32_fp8_fp8 v[12:15], a[108:109], a[36:37], v[12:15]// 00000000CAE4: D3F3000C 1C32496C
	v_mfma_f32_16x16x32_fp8_fp8 v[12:15], a[110:111], a[38:39], v[12:15]// 00000000CAEC: D3F3000C 1C324D6E
	v_fma_f32 v132, v8, v4, v132                               // 00000000CAF4: D1CB0084 06120908
	v_fma_f32 v133, v9, v4, v133                               // 00000000CAFC: D1CB0085 06160909
	v_fma_f32 v134, v10, v4, v134                              // 00000000CB04: D1CB0086 061A090A
	v_fma_f32 v135, v11, v4, v135                              // 00000000CB0C: D1CB0087 061E090B
	v_mul_f32_dpp v6, v28, v47 row_newbcast:0 row_mask:0xf bank_mask:0xf// 00000000CB14: 0A0C5EFA FF01501C
	v_mfma_f32_16x16x32_fp8_fp8 v[8:11], a[96:97], a[40:41], 0 // 00000000CB1C: D3F30008 1A025160
	s_add_u32 s60, 0x180, s80                                  // 00000000CB24: 803C50FF 00000180
	s_cmp_lt_u32 s60, s81                                      // 00000000CB2C: BF0A513C
	s_cselect_b32 s57, s57, 0                                  // 00000000CB30: 85398039
	s_cselect_b32 s3, s3, 0                                    // 00000000CB34: 85038003
	v_mfma_f32_16x16x32_fp8_fp8 v[8:11], a[98:99], a[42:43], v[8:11]// 00000000CB38: D3F30008 1C225562
	s_add_u32 s60, 0x100, s80                                  // 00000000CB40: 803C50FF 00000100
	s_cmp_lt_u32 s60, s81                                      // 00000000CB48: BF0A513C
	s_cselect_b32 s58, s58, 0                                  // 00000000CB4C: 853A803A
	v_mfma_f32_16x16x32_fp8_fp8 v[8:11], a[100:101], a[44:45], v[8:11]// 00000000CB50: D3F30008 1C225964
	s_add_u32 s60, 0x100, s80                                  // 00000000CB58: 803C50FF 00000100
	s_cmp_lt_u32 s60, s81                                      // 00000000CB60: BF0A513C
	s_cselect_b32 s83, s83, 0                                  // 00000000CB64: 85538053
	s_cselect_b32 s4, s4, 0                                    // 00000000CB68: 85048004
	v_mfma_f32_16x16x32_fp8_fp8 v[8:11], a[102:103], a[46:47], v[8:11]// 00000000CB6C: D3F30008 1C225D66
	s_add_u32 s24, s58, s24                                    // 00000000CB74: 8018183A
	s_addc_u32 s25, 0, s25                                     // 00000000CB78: 82191980
	v_fma_f32 v156, v12, v4, v156                              // 00000000CB7C: D1CB009C 0672090C
	v_fma_f32 v157, v13, v4, v157                              // 00000000CB84: D1CB009D 0676090D
	v_fma_f32 v158, v14, v4, v158                              // 00000000CB8C: D1CB009E 067A090E
	v_fma_f32 v159, v15, v4, v159                              // 00000000CB94: D1CB009F 067E090F
	v_mfma_f32_16x16x32_fp8_fp8 v[12:15], a[104:105], a[40:41], 0// 00000000CB9C: D3F3000C 1A025168
	s_add_u32 s20, s57, s20                                    // 00000000CBA4: 80141439
	s_addc_u32 s21, 0, s21                                     // 00000000CBA8: 82151580
	s_add_u32 s28, s3, s28                                     // 00000000CBAC: 801C1C03
	s_addc_u32 s29, 0, s29                                     // 00000000CBB0: 821D1D80
	v_mfma_f32_16x16x32_fp8_fp8 v[12:15], a[106:107], a[42:43], v[12:15]// 00000000CBB4: D3F3000C 1C32556A
	s_add_u32 s84, s83, s84                                    // 00000000CBBC: 80545453
	s_addc_u32 s85, 0, s85                                     // 00000000CBC0: 82555580
	v_mfma_f32_16x16x32_fp8_fp8 v[12:15], a[108:109], a[44:45], v[12:15]// 00000000CBC4: D3F3000C 1C32596C
	s_add_u32 s32, s4, s32                                     // 00000000CBCC: 80202004
	s_addc_u32 s33, 0, s33                                     // 00000000CBD0: 82212180
	v_mfma_f32_16x16x32_fp8_fp8 v[12:15], a[110:111], a[46:47], v[12:15]// 00000000CBD4: D3F3000C 1C325D6E
	v_fma_f32 v136, v8, v6, v136                               // 00000000CBDC: D1CB0088 06220D08
	v_fma_f32 v137, v9, v6, v137                               // 00000000CBE4: D1CB0089 06260D09
	v_fma_f32 v138, v10, v6, v138                              // 00000000CBEC: D1CB008A 062A0D0A
	v_fma_f32 v139, v11, v6, v139                              // 00000000CBF4: D1CB008B 062E0D0B
	v_fma_f32 v160, v12, v6, v160                              // 00000000CBFC: D1CB00A0 06820D0C
	v_fma_f32 v161, v13, v6, v161                              // 00000000CC04: D1CB00A1 06860D0D
	v_fma_f32 v162, v14, v6, v162                              // 00000000CC0C: D1CB00A2 068A0D0E
	v_fma_f32 v163, v15, v6, v163                              // 00000000CC14: D1CB00A3 068E0D0F
	s_addk_i32 s80, 0x80                                       // 00000000CC1C: B7500080
	s_cmp_lt_i32 s80, s81                                      // 00000000CC20: BF045150
	s_cbranch_scc0 label_2AAB                                  // 00000000CC24: BF84021E
	s_waitcnt vmcnt(23) lgkmcnt(0)                             // 00000000CC28: BF8C4077
	v_mul_f32_dpp v4, v26, v48 row_newbcast:0 row_mask:0xf bank_mask:0xf// 00000000CC2C: 0A0860FA FF01501A
	v_mfma_f32_16x16x32_fp8_fp8 v[8:11], a[112:113], a[48:49], 0// 00000000CC34: D3F30008 1A026170
	buffer_load_dword v24, v22, s[32:35], 0 offen              // 00000000CC3C: E0501000 80081816
	buffer_load_dwordx4 a[96:99], v66, s[24:27], 0 offen       // 00000000CC44: E05C1000 80866042
	v_mfma_f32_16x16x32_fp8_fp8 v[8:11], a[114:115], a[50:51], v[8:11]// 00000000CC4C: D3F30008 1C226572
	v_mfma_f32_16x16x32_fp8_fp8 v[8:11], a[116:117], a[52:53], v[8:11]// 00000000CC54: D3F30008 1C226974
	v_mfma_f32_16x16x32_fp8_fp8 v[8:11], a[118:119], a[54:55], v[8:11]// 00000000CC5C: D3F30008 1C226D76
	v_mfma_f32_16x16x32_fp8_fp8 v[12:15], a[120:121], a[48:49], 0// 00000000CC64: D3F3000C 1A026178
	buffer_load_dwordx4 a[100:103], v66, s[24:27], 0 offen offset:1024// 00000000CC6C: E05C1400 80866442
	v_mfma_f32_16x16x32_fp8_fp8 v[12:15], a[122:123], a[50:51], v[12:15]// 00000000CC74: D3F3000C 1C32657A
	v_mfma_f32_16x16x32_fp8_fp8 v[12:15], a[124:125], a[52:53], v[12:15]// 00000000CC7C: D3F3000C 1C32697C
	v_mfma_f32_16x16x32_fp8_fp8 v[12:15], a[126:127], a[54:55], v[12:15]// 00000000CC84: D3F3000C 1C326D7E
	v_fma_f32 v68, v8, v4, v68                                 // 00000000CC8C: D1CB0044 05120908
	v_fma_f32 v69, v9, v4, v69                                 // 00000000CC94: D1CB0045 05160909
	v_fma_f32 v70, v10, v4, v70                                // 00000000CC9C: D1CB0046 051A090A
	v_fma_f32 v71, v11, v4, v71                                // 00000000CCA4: D1CB0047 051E090B
	v_mul_f32_dpp v6, v26, v49 row_newbcast:0 row_mask:0xf bank_mask:0xf// 00000000CCAC: 0A0C62FA FF01501A
	v_mfma_f32_16x16x32_fp8_fp8 v[8:11], a[112:113], a[56:57], 0// 00000000CCB4: D3F30008 1A027170
	buffer_load_dwordx4 a[104:107], v67, s[24:27], 0 offen     // 00000000CCBC: E05C1000 80866843
	v_mfma_f32_16x16x32_fp8_fp8 v[8:11], a[114:115], a[58:59], v[8:11]// 00000000CCC4: D3F30008 1C227572
	v_mfma_f32_16x16x32_fp8_fp8 v[8:11], a[116:117], a[60:61], v[8:11]// 00000000CCCC: D3F30008 1C227974
	v_mfma_f32_16x16x32_fp8_fp8 v[8:11], a[118:119], a[62:63], v[8:11]// 00000000CCD4: D3F30008 1C227D76
	v_fma_f32 v92, v12, v4, v92                                // 00000000CCDC: D1CB005C 0572090C
	v_fma_f32 v93, v13, v4, v93                                // 00000000CCE4: D1CB005D 0576090D
	v_fma_f32 v94, v14, v4, v94                                // 00000000CCEC: D1CB005E 057A090E
	v_fma_f32 v95, v15, v4, v95                                // 00000000CCF4: D1CB005F 057E090F
	v_mfma_f32_16x16x32_fp8_fp8 v[12:15], a[120:121], a[56:57], 0// 00000000CCFC: D3F3000C 1A027178
	buffer_load_dwordx4 a[108:111], v67, s[24:27], 0 offen offset:1024// 00000000CD04: E05C1400 80866C43
	buffer_load_dword v54, s[20:23], 0 offen lds               // 00000000CD0C: E0511000 80050036
	s_add_u32 m0, 0x100, s49                                   // 00000000CD14: 807C31FF 00000100
	v_mfma_f32_16x16x32_fp8_fp8 v[12:15], a[122:123], a[58:59], v[12:15]// 00000000CD1C: D3F3000C 1C32757A
	v_mfma_f32_16x16x32_fp8_fp8 v[12:15], a[124:125], a[60:61], v[12:15]// 00000000CD24: D3F3000C 1C32797C
	buffer_load_dword v55, s[20:23], 0 offen lds               // 00000000CD2C: E0511000 80050037
	s_add_u32 m0, 0x200, s49                                   // 00000000CD34: 807C31FF 00000200
	v_mfma_f32_16x16x32_fp8_fp8 v[12:15], a[126:127], a[62:63], v[12:15]// 00000000CD3C: D3F3000C 1C327D7E
	v_fma_f32 v72, v8, v6, v72                                 // 00000000CD44: D1CB0048 05220D08
	v_fma_f32 v73, v9, v6, v73                                 // 00000000CD4C: D1CB0049 05260D09
	v_fma_f32 v74, v10, v6, v74                                // 00000000CD54: D1CB004A 052A0D0A
	v_fma_f32 v75, v11, v6, v75                                // 00000000CD5C: D1CB004B 052E0D0B
	v_mul_f32_dpp v4, v26, v50 row_newbcast:0 row_mask:0xf bank_mask:0xf// 00000000CD64: 0A0864FA FF01501A
	v_mfma_f32_16x16x32_fp8_fp8 v[8:11], a[112:113], a[64:65], 0// 00000000CD6C: D3F30008 1A028170
	buffer_load_dword v56, s[20:23], 0 offen lds               // 00000000CD74: E0511000 80050038
	s_add_u32 m0, 0x300, s49                                   // 00000000CD7C: 807C31FF 00000300
	v_mfma_f32_16x16x32_fp8_fp8 v[8:11], a[114:115], a[66:67], v[8:11]// 00000000CD84: D3F30008 1C228572
	v_mfma_f32_16x16x32_fp8_fp8 v[8:11], a[116:117], a[68:69], v[8:11]// 00000000CD8C: D3F30008 1C228974
	buffer_load_dword v57, s[20:23], 0 offen lds               // 00000000CD94: E0511000 80050039
	s_add_u32 m0, 0x400, s49                                   // 00000000CD9C: 807C31FF 00000400
	v_mfma_f32_16x16x32_fp8_fp8 v[8:11], a[118:119], a[70:71], v[8:11]// 00000000CDA4: D3F30008 1C228D76
	v_fma_f32 v96, v12, v6, v96                                // 00000000CDAC: D1CB0060 05820D0C
	v_fma_f32 v97, v13, v6, v97                                // 00000000CDB4: D1CB0061 05860D0D
	v_fma_f32 v98, v14, v6, v98                                // 00000000CDBC: D1CB0062 058A0D0E
	v_fma_f32 v99, v15, v6, v99                                // 00000000CDC4: D1CB0063 058E0D0F
	v_mfma_f32_16x16x32_fp8_fp8 v[12:15], a[120:121], a[64:65], 0// 00000000CDCC: D3F3000C 1A028178
	buffer_load_dword v58, s[20:23], 0 offen lds               // 00000000CDD4: E0511000 8005003A
	s_add_u32 m0, 0x500, s49                                   // 00000000CDDC: 807C31FF 00000500
	v_mfma_f32_16x16x32_fp8_fp8 v[12:15], a[122:123], a[66:67], v[12:15]// 00000000CDE4: D3F3000C 1C32857A
	v_mfma_f32_16x16x32_fp8_fp8 v[12:15], a[124:125], a[68:69], v[12:15]// 00000000CDEC: D3F3000C 1C32897C
	buffer_load_dword v59, s[20:23], 0 offen lds               // 00000000CDF4: E0511000 8005003B
	s_add_u32 m0, 0x600, s49                                   // 00000000CDFC: 807C31FF 00000600
	v_mfma_f32_16x16x32_fp8_fp8 v[12:15], a[126:127], a[70:71], v[12:15]// 00000000CE04: D3F3000C 1C328D7E
	v_fma_f32 v76, v8, v4, v76                                 // 00000000CE0C: D1CB004C 05320908
	v_fma_f32 v77, v9, v4, v77                                 // 00000000CE14: D1CB004D 05360909
	v_fma_f32 v78, v10, v4, v78                                // 00000000CE1C: D1CB004E 053A090A
	v_fma_f32 v79, v11, v4, v79                                // 00000000CE24: D1CB004F 053E090B
	v_mul_f32_dpp v6, v26, v51 row_newbcast:0 row_mask:0xf bank_mask:0xf// 00000000CE2C: 0A0C66FA FF01501A
	v_mfma_f32_16x16x32_fp8_fp8 v[8:11], a[112:113], a[72:73], 0// 00000000CE34: D3F30008 1A029170
	buffer_load_dword v60, s[20:23], 0 offen lds               // 00000000CE3C: E0511000 8005003C
	s_add_u32 m0, 0x700, s49                                   // 00000000CE44: 807C31FF 00000700
	v_mfma_f32_16x16x32_fp8_fp8 v[8:11], a[114:115], a[74:75], v[8:11]// 00000000CE4C: D3F30008 1C229572
	v_mfma_f32_16x16x32_fp8_fp8 v[8:11], a[116:117], a[76:77], v[8:11]// 00000000CE54: D3F30008 1C229974
	buffer_load_dword v61, s[20:23], 0 offen lds               // 00000000CE5C: E0511000 8005003D
	s_add_u32 m0, 0x800, s49                                   // 00000000CE64: 807C31FF 00000800
	v_mfma_f32_16x16x32_fp8_fp8 v[8:11], a[118:119], a[78:79], v[8:11]// 00000000CE6C: D3F30008 1C229D76
	v_fma_f32 v100, v12, v4, v100                              // 00000000CE74: D1CB0064 0592090C
	v_fma_f32 v101, v13, v4, v101                              // 00000000CE7C: D1CB0065 0596090D
	v_fma_f32 v102, v14, v4, v102                              // 00000000CE84: D1CB0066 059A090E
	v_fma_f32 v103, v15, v4, v103                              // 00000000CE8C: D1CB0067 059E090F
	v_mfma_f32_16x16x32_fp8_fp8 v[12:15], a[120:121], a[72:73], 0// 00000000CE94: D3F3000C 1A029178
	buffer_load_dword v62, s[20:23], 0 offen lds               // 00000000CE9C: E0511000 8005003E
	s_add_u32 m0, 0x900, s49                                   // 00000000CEA4: 807C31FF 00000900
	v_mfma_f32_16x16x32_fp8_fp8 v[12:15], a[122:123], a[74:75], v[12:15]// 00000000CEAC: D3F3000C 1C32957A
	v_mfma_f32_16x16x32_fp8_fp8 v[12:15], a[124:125], a[76:77], v[12:15]// 00000000CEB4: D3F3000C 1C32997C
	buffer_load_dword v63, s[20:23], 0 offen lds               // 00000000CEBC: E0511000 8005003F
	s_add_u32 m0, 0xa00, s49                                   // 00000000CEC4: 807C31FF 00000A00
	v_mfma_f32_16x16x32_fp8_fp8 v[12:15], a[126:127], a[78:79], v[12:15]// 00000000CECC: D3F3000C 1C329D7E
	v_fma_f32 v80, v8, v6, v80                                 // 00000000CED4: D1CB0050 05420D08
	v_fma_f32 v81, v9, v6, v81                                 // 00000000CEDC: D1CB0051 05460D09
	v_fma_f32 v82, v10, v6, v82                                // 00000000CEE4: D1CB0052 054A0D0A
	v_fma_f32 v83, v11, v6, v83                                // 00000000CEEC: D1CB0053 054E0D0B
	v_mul_f32_dpp v4, v26, v52 row_newbcast:0 row_mask:0xf bank_mask:0xf// 00000000CEF4: 0A0868FA FF01501A
	v_mfma_f32_16x16x32_fp8_fp8 v[8:11], a[112:113], a[80:81], 0// 00000000CEFC: D3F30008 1A02A170
	buffer_load_dword v64, s[20:23], 0 offen lds               // 00000000CF04: E0511000 80050040
	s_add_u32 m0, 0xb00, s49                                   // 00000000CF0C: 807C31FF 00000B00
	v_mfma_f32_16x16x32_fp8_fp8 v[8:11], a[114:115], a[82:83], v[8:11]// 00000000CF14: D3F30008 1C22A572
	v_mfma_f32_16x16x32_fp8_fp8 v[8:11], a[116:117], a[84:85], v[8:11]// 00000000CF1C: D3F30008 1C22A974
	buffer_load_dword v65, s[20:23], 0 offen lds               // 00000000CF24: E0511000 80050041
	s_add_u32 m0, 0, s50                                       // 00000000CF2C: 807C3280
	v_mfma_f32_16x16x32_fp8_fp8 v[8:11], a[118:119], a[86:87], v[8:11]// 00000000CF30: D3F30008 1C22AD76
	v_fma_f32 v104, v12, v6, v104                              // 00000000CF38: D1CB0068 05A20D0C
	v_fma_f32 v105, v13, v6, v105                              // 00000000CF40: D1CB0069 05A60D0D
	v_fma_f32 v106, v14, v6, v106                              // 00000000CF48: D1CB006A 05AA0D0E
	v_fma_f32 v107, v15, v6, v107                              // 00000000CF50: D1CB006B 05AE0D0F
	v_mfma_f32_16x16x32_fp8_fp8 v[12:15], a[120:121], a[80:81], 0// 00000000CF58: D3F3000C 1A02A178
	buffer_load_dword v42, v30, s[28:31], 0 offen              // 00000000CF60: E0501000 80072A1E
	v_mfma_f32_16x16x32_fp8_fp8 v[12:15], a[122:123], a[82:83], v[12:15]// 00000000CF68: D3F3000C 1C32A57A
	v_mfma_f32_16x16x32_fp8_fp8 v[12:15], a[124:125], a[84:85], v[12:15]// 00000000CF70: D3F3000C 1C32A97C
	buffer_load_dword v43, v31, s[28:31], 0 offen              // 00000000CF78: E0501000 80072B1F
	v_mfma_f32_16x16x32_fp8_fp8 v[12:15], a[126:127], a[86:87], v[12:15]// 00000000CF80: D3F3000C 1C32AD7E
	v_fma_f32 v84, v8, v4, v84                                 // 00000000CF88: D1CB0054 05520908
	v_fma_f32 v85, v9, v4, v85                                 // 00000000CF90: D1CB0055 05560909
	v_fma_f32 v86, v10, v4, v86                                // 00000000CF98: D1CB0056 055A090A
	v_fma_f32 v87, v11, v4, v87                                // 00000000CFA0: D1CB0057 055E090B
	v_mul_f32_dpp v6, v26, v53 row_newbcast:0 row_mask:0xf bank_mask:0xf// 00000000CFA8: 0A0C6AFA FF01501A
	v_mfma_f32_16x16x32_fp8_fp8 v[8:11], a[112:113], a[88:89], 0// 00000000CFB0: D3F30008 1A02B170
	buffer_load_dword v44, v32, s[28:31], 0 offen              // 00000000CFB8: E0501000 80072C20
	v_mfma_f32_16x16x32_fp8_fp8 v[8:11], a[114:115], a[90:91], v[8:11]// 00000000CFC0: D3F30008 1C22B572
	v_mfma_f32_16x16x32_fp8_fp8 v[8:11], a[116:117], a[92:93], v[8:11]// 00000000CFC8: D3F30008 1C22B974
	buffer_load_dword v45, v33, s[28:31], 0 offen              // 00000000CFD0: E0501000 80072D21
	v_mfma_f32_16x16x32_fp8_fp8 v[8:11], a[118:119], a[94:95], v[8:11]// 00000000CFD8: D3F30008 1C22BD76
	v_fma_f32 v108, v12, v4, v108                              // 00000000CFE0: D1CB006C 05B2090C
	v_fma_f32 v109, v13, v4, v109                              // 00000000CFE8: D1CB006D 05B6090D
	v_fma_f32 v110, v14, v4, v110                              // 00000000CFF0: D1CB006E 05BA090E
	v_fma_f32 v111, v15, v4, v111                              // 00000000CFF8: D1CB006F 05BE090F
	v_mfma_f32_16x16x32_fp8_fp8 v[12:15], a[120:121], a[88:89], 0// 00000000D000: D3F3000C 1A02B178
	buffer_load_dword v46, v34, s[28:31], 0 offen              // 00000000D008: E0501000 80072E22
	v_mfma_f32_16x16x32_fp8_fp8 v[12:15], a[122:123], a[90:91], v[12:15]// 00000000D010: D3F3000C 1C32B57A
	v_mfma_f32_16x16x32_fp8_fp8 v[12:15], a[124:125], a[92:93], v[12:15]// 00000000D018: D3F3000C 1C32B97C
	buffer_load_dword v47, v35, s[28:31], 0 offen              // 00000000D020: E0501000 80072F23
	v_mfma_f32_16x16x32_fp8_fp8 v[12:15], a[126:127], a[94:95], v[12:15]// 00000000D028: D3F3000C 1C32BD7E
	v_fma_f32 v88, v8, v6, v88                                 // 00000000D030: D1CB0058 05620D08
	v_fma_f32 v89, v9, v6, v89                                 // 00000000D038: D1CB0059 05660D09
	v_fma_f32 v90, v10, v6, v90                                // 00000000D040: D1CB005A 056A0D0A
	v_fma_f32 v91, v11, v6, v91                                // 00000000D048: D1CB005B 056E0D0B
	v_fma_f32 v112, v12, v6, v112                              // 00000000D050: D1CB0070 05C20D0C
	v_fma_f32 v113, v13, v6, v113                              // 00000000D058: D1CB0071 05C60D0D
	v_fma_f32 v114, v14, v6, v114                              // 00000000D060: D1CB0072 05CA0D0E
	v_fma_f32 v115, v15, v6, v115                              // 00000000D068: D1CB0073 05CE0D0F
	s_waitcnt vmcnt(23)                                        // 00000000D070: BF8C4F77
	s_barrier                                                  // 00000000D074: BF8A0000
	v_mul_f32_dpp v4, v29, v48 row_newbcast:0 row_mask:0xf bank_mask:0xf// 00000000D078: 0A0860FA FF01501D
	v_mfma_f32_16x16x32_fp8_fp8 v[8:11], a[128:129], a[48:49], 0// 00000000D080: D3F30008 1A026180
	buffer_load_dword v27, v23, s[32:35], 0 offen              // 00000000D088: E0501000 80081B17
	buffer_load_dwordx4 a[112:115], v66, s[84:87], 0 offen     // 00000000D090: E05C1000 80957042
	v_mfma_f32_16x16x32_fp8_fp8 v[8:11], a[130:131], a[50:51], v[8:11]// 00000000D098: D3F30008 1C226582
	v_mfma_f32_16x16x32_fp8_fp8 v[8:11], a[132:133], a[52:53], v[8:11]// 00000000D0A0: D3F30008 1C226984
	ds_read_b128 a[0:3], v2                                    // 00000000D0A8: DBFE0000 00000002
	ds_read_b128 a[4:7], v2 offset:64                          // 00000000D0B0: DBFE0040 04000002
	v_mfma_f32_16x16x32_fp8_fp8 v[8:11], a[134:135], a[54:55], v[8:11]// 00000000D0B8: D3F30008 1C226D86
	v_mfma_f32_16x16x32_fp8_fp8 v[12:15], a[136:137], a[48:49], 0// 00000000D0C0: D3F3000C 1A026188
	buffer_load_dwordx4 a[116:119], v66, s[84:87], 0 offen offset:1024// 00000000D0C8: E05C1400 80957442
	v_mfma_f32_16x16x32_fp8_fp8 v[12:15], a[138:139], a[50:51], v[12:15]// 00000000D0D0: D3F3000C 1C32658A
	v_mfma_f32_16x16x32_fp8_fp8 v[12:15], a[140:141], a[52:53], v[12:15]// 00000000D0D8: D3F3000C 1C32698C
	ds_read_b128 a[8:11], v2 offset:512                        // 00000000D0E0: DBFE0200 08000002
	ds_read_b128 a[12:15], v2 offset:576                       // 00000000D0E8: DBFE0240 0C000002
	v_mfma_f32_16x16x32_fp8_fp8 v[12:15], a[142:143], a[54:55], v[12:15]// 00000000D0F0: D3F3000C 1C326D8E
	v_fma_f32 v116, v8, v4, v116                               // 00000000D0F8: D1CB0074 05D20908
	v_fma_f32 v117, v9, v4, v117                               // 00000000D100: D1CB0075 05D60909
	v_fma_f32 v118, v10, v4, v118                              // 00000000D108: D1CB0076 05DA090A
	v_fma_f32 v119, v11, v4, v119                              // 00000000D110: D1CB0077 05DE090B
	v_mul_f32_dpp v6, v29, v49 row_newbcast:0 row_mask:0xf bank_mask:0xf// 00000000D118: 0A0C62FA FF01501D
	v_mfma_f32_16x16x32_fp8_fp8 v[8:11], a[128:129], a[56:57], 0// 00000000D120: D3F30008 1A027180
	buffer_load_dwordx4 a[120:123], v67, s[84:87], 0 offen     // 00000000D128: E05C1000 80957843
	v_mfma_f32_16x16x32_fp8_fp8 v[8:11], a[130:131], a[58:59], v[8:11]// 00000000D130: D3F30008 1C227582
	v_mfma_f32_16x16x32_fp8_fp8 v[8:11], a[132:133], a[60:61], v[8:11]// 00000000D138: D3F30008 1C227984
	ds_read_b128 a[16:19], v2 offset:1024                      // 00000000D140: DBFE0400 10000002
	ds_read_b128 a[20:23], v2 offset:1088                      // 00000000D148: DBFE0440 14000002
	v_mfma_f32_16x16x32_fp8_fp8 v[8:11], a[134:135], a[62:63], v[8:11]// 00000000D150: D3F30008 1C227D86
	v_fma_f32 v140, v12, v4, v140                              // 00000000D158: D1CB008C 0632090C
	v_fma_f32 v141, v13, v4, v141                              // 00000000D160: D1CB008D 0636090D
	v_fma_f32 v142, v14, v4, v142                              // 00000000D168: D1CB008E 063A090E
	v_fma_f32 v143, v15, v4, v143                              // 00000000D170: D1CB008F 063E090F
	v_mfma_f32_16x16x32_fp8_fp8 v[12:15], a[136:137], a[56:57], 0// 00000000D178: D3F3000C 1A027188
	buffer_load_dwordx4 a[124:127], v67, s[84:87], 0 offen offset:1024// 00000000D180: E05C1400 80957C43
	v_mfma_f32_16x16x32_fp8_fp8 v[12:15], a[138:139], a[58:59], v[12:15]// 00000000D188: D3F3000C 1C32758A
	v_mfma_f32_16x16x32_fp8_fp8 v[12:15], a[140:141], a[60:61], v[12:15]// 00000000D190: D3F3000C 1C32798C
	ds_read_b128 a[24:27], v2 offset:1536                      // 00000000D198: DBFE0600 18000002
	ds_read_b128 a[28:31], v2 offset:1600                      // 00000000D1A0: DBFE0640 1C000002
	v_mfma_f32_16x16x32_fp8_fp8 v[12:15], a[142:143], a[62:63], v[12:15]// 00000000D1A8: D3F3000C 1C327D8E
	v_fma_f32 v120, v8, v6, v120                               // 00000000D1B0: D1CB0078 05E20D08
	v_fma_f32 v121, v9, v6, v121                               // 00000000D1B8: D1CB0079 05E60D09
	v_fma_f32 v122, v10, v6, v122                              // 00000000D1C0: D1CB007A 05EA0D0A
	v_fma_f32 v123, v11, v6, v123                              // 00000000D1C8: D1CB007B 05EE0D0B
	v_mul_f32_dpp v4, v29, v50 row_newbcast:0 row_mask:0xf bank_mask:0xf// 00000000D1D0: 0A0864FA FF01501D
	v_mfma_f32_16x16x32_fp8_fp8 v[8:11], a[128:129], a[64:65], 0// 00000000D1D8: D3F30008 1A028180
	v_mfma_f32_16x16x32_fp8_fp8 v[8:11], a[130:131], a[66:67], v[8:11]// 00000000D1E0: D3F30008 1C228582
	v_mfma_f32_16x16x32_fp8_fp8 v[8:11], a[132:133], a[68:69], v[8:11]// 00000000D1E8: D3F30008 1C228984
	ds_read_b128 a[32:35], v2 offset:2048                      // 00000000D1F0: DBFE0800 20000002
	ds_read_b128 a[36:39], v2 offset:2112                      // 00000000D1F8: DBFE0840 24000002
	v_mfma_f32_16x16x32_fp8_fp8 v[8:11], a[134:135], a[70:71], v[8:11]// 00000000D200: D3F30008 1C228D86
	v_fma_f32 v144, v12, v6, v144                              // 00000000D208: D1CB0090 06420D0C
	v_fma_f32 v145, v13, v6, v145                              // 00000000D210: D1CB0091 06460D0D
	v_fma_f32 v146, v14, v6, v146                              // 00000000D218: D1CB0092 064A0D0E
	v_fma_f32 v147, v15, v6, v147                              // 00000000D220: D1CB0093 064E0D0F
	v_mfma_f32_16x16x32_fp8_fp8 v[12:15], a[136:137], a[64:65], 0// 00000000D228: D3F3000C 1A028188
	v_mfma_f32_16x16x32_fp8_fp8 v[12:15], a[138:139], a[66:67], v[12:15]// 00000000D230: D3F3000C 1C32858A
	v_mfma_f32_16x16x32_fp8_fp8 v[12:15], a[140:141], a[68:69], v[12:15]// 00000000D238: D3F3000C 1C32898C
	ds_read_b128 a[40:43], v2 offset:2560                      // 00000000D240: DBFE0A00 28000002
	ds_read_b128 a[44:47], v2 offset:2624                      // 00000000D248: DBFE0A40 2C000002
	v_mfma_f32_16x16x32_fp8_fp8 v[12:15], a[142:143], a[70:71], v[12:15]// 00000000D250: D3F3000C 1C328D8E
	v_fma_f32 v124, v8, v4, v124                               // 00000000D258: D1CB007C 05F20908
	v_fma_f32 v125, v9, v4, v125                               // 00000000D260: D1CB007D 05F60909
	v_fma_f32 v126, v10, v4, v126                              // 00000000D268: D1CB007E 05FA090A
	v_fma_f32 v127, v11, v4, v127                              // 00000000D270: D1CB007F 05FE090B
	v_mul_f32_dpp v6, v29, v51 row_newbcast:0 row_mask:0xf bank_mask:0xf// 00000000D278: 0A0C66FA FF01501D
	v_mfma_f32_16x16x32_fp8_fp8 v[8:11], a[128:129], a[72:73], 0// 00000000D280: D3F30008 1A029180
	v_mfma_f32_16x16x32_fp8_fp8 v[8:11], a[130:131], a[74:75], v[8:11]// 00000000D288: D3F30008 1C229582
	v_mfma_f32_16x16x32_fp8_fp8 v[8:11], a[132:133], a[76:77], v[8:11]// 00000000D290: D3F30008 1C229984
	v_mfma_f32_16x16x32_fp8_fp8 v[8:11], a[134:135], a[78:79], v[8:11]// 00000000D298: D3F30008 1C229D86
	v_fma_f32 v148, v12, v4, v148                              // 00000000D2A0: D1CB0094 0652090C
	v_fma_f32 v149, v13, v4, v149                              // 00000000D2A8: D1CB0095 0656090D
	v_fma_f32 v150, v14, v4, v150                              // 00000000D2B0: D1CB0096 065A090E
	v_fma_f32 v151, v15, v4, v151                              // 00000000D2B8: D1CB0097 065E090F
	v_mfma_f32_16x16x32_fp8_fp8 v[12:15], a[136:137], a[72:73], 0// 00000000D2C0: D3F3000C 1A029188
	v_mfma_f32_16x16x32_fp8_fp8 v[12:15], a[138:139], a[74:75], v[12:15]// 00000000D2C8: D3F3000C 1C32958A
	v_mfma_f32_16x16x32_fp8_fp8 v[12:15], a[140:141], a[76:77], v[12:15]// 00000000D2D0: D3F3000C 1C32998C
	v_mfma_f32_16x16x32_fp8_fp8 v[12:15], a[142:143], a[78:79], v[12:15]// 00000000D2D8: D3F3000C 1C329D8E
	v_fma_f32 v128, v8, v6, v128                               // 00000000D2E0: D1CB0080 06020D08
	v_fma_f32 v129, v9, v6, v129                               // 00000000D2E8: D1CB0081 06060D09
	v_fma_f32 v130, v10, v6, v130                              // 00000000D2F0: D1CB0082 060A0D0A
	v_fma_f32 v131, v11, v6, v131                              // 00000000D2F8: D1CB0083 060E0D0B
	v_mul_f32_dpp v4, v29, v52 row_newbcast:0 row_mask:0xf bank_mask:0xf// 00000000D300: 0A0868FA FF01501D
	v_mfma_f32_16x16x32_fp8_fp8 v[8:11], a[128:129], a[80:81], 0// 00000000D308: D3F30008 1A02A180
	v_mfma_f32_16x16x32_fp8_fp8 v[8:11], a[130:131], a[82:83], v[8:11]// 00000000D310: D3F30008 1C22A582
	v_mfma_f32_16x16x32_fp8_fp8 v[8:11], a[132:133], a[84:85], v[8:11]// 00000000D318: D3F30008 1C22A984
	v_mfma_f32_16x16x32_fp8_fp8 v[8:11], a[134:135], a[86:87], v[8:11]// 00000000D320: D3F30008 1C22AD86
	v_fma_f32 v152, v12, v6, v152                              // 00000000D328: D1CB0098 06620D0C
	v_fma_f32 v153, v13, v6, v153                              // 00000000D330: D1CB0099 06660D0D
	v_fma_f32 v154, v14, v6, v154                              // 00000000D338: D1CB009A 066A0D0E
	v_fma_f32 v155, v15, v6, v155                              // 00000000D340: D1CB009B 066E0D0F
	v_mfma_f32_16x16x32_fp8_fp8 v[12:15], a[136:137], a[80:81], 0// 00000000D348: D3F3000C 1A02A188
	v_mfma_f32_16x16x32_fp8_fp8 v[12:15], a[138:139], a[82:83], v[12:15]// 00000000D350: D3F3000C 1C32A58A
	v_mfma_f32_16x16x32_fp8_fp8 v[12:15], a[140:141], a[84:85], v[12:15]// 00000000D358: D3F3000C 1C32A98C
	v_mfma_f32_16x16x32_fp8_fp8 v[12:15], a[142:143], a[86:87], v[12:15]// 00000000D360: D3F3000C 1C32AD8E
	v_fma_f32 v132, v8, v4, v132                               // 00000000D368: D1CB0084 06120908
	v_fma_f32 v133, v9, v4, v133                               // 00000000D370: D1CB0085 06160909
	v_fma_f32 v134, v10, v4, v134                              // 00000000D378: D1CB0086 061A090A
	v_fma_f32 v135, v11, v4, v135                              // 00000000D380: D1CB0087 061E090B
	v_mul_f32_dpp v6, v29, v53 row_newbcast:0 row_mask:0xf bank_mask:0xf// 00000000D388: 0A0C6AFA FF01501D
	v_mfma_f32_16x16x32_fp8_fp8 v[8:11], a[128:129], a[88:89], 0// 00000000D390: D3F30008 1A02B180
	s_add_u32 s60, 0x180, s80                                  // 00000000D398: 803C50FF 00000180
	s_cmp_lt_u32 s60, s81                                      // 00000000D3A0: BF0A513C
	s_cselect_b32 s57, s57, 0                                  // 00000000D3A4: 85398039
	s_cselect_b32 s3, s3, 0                                    // 00000000D3A8: 85038003
	v_mfma_f32_16x16x32_fp8_fp8 v[8:11], a[130:131], a[90:91], v[8:11]// 00000000D3AC: D3F30008 1C22B582
	s_add_u32 s60, 0x100, s80                                  // 00000000D3B4: 803C50FF 00000100
	s_cmp_lt_u32 s60, s81                                      // 00000000D3BC: BF0A513C
	s_cselect_b32 s58, s58, 0                                  // 00000000D3C0: 853A803A
	v_mfma_f32_16x16x32_fp8_fp8 v[8:11], a[132:133], a[92:93], v[8:11]// 00000000D3C4: D3F30008 1C22B984
	s_add_u32 s60, 0x100, s80                                  // 00000000D3CC: 803C50FF 00000100
	s_cmp_lt_u32 s60, s81                                      // 00000000D3D4: BF0A513C
	s_cselect_b32 s83, s83, 0                                  // 00000000D3D8: 85538053
	s_cselect_b32 s4, s4, 0                                    // 00000000D3DC: 85048004
	v_mfma_f32_16x16x32_fp8_fp8 v[8:11], a[134:135], a[94:95], v[8:11]// 00000000D3E0: D3F30008 1C22BD86
	s_add_u32 s24, s58, s24                                    // 00000000D3E8: 8018183A
	s_addc_u32 s25, 0, s25                                     // 00000000D3EC: 82191980
	v_fma_f32 v156, v12, v4, v156                              // 00000000D3F0: D1CB009C 0672090C
	v_fma_f32 v157, v13, v4, v157                              // 00000000D3F8: D1CB009D 0676090D
	v_fma_f32 v158, v14, v4, v158                              // 00000000D400: D1CB009E 067A090E
	v_fma_f32 v159, v15, v4, v159                              // 00000000D408: D1CB009F 067E090F
	v_mfma_f32_16x16x32_fp8_fp8 v[12:15], a[136:137], a[88:89], 0// 00000000D410: D3F3000C 1A02B188
	s_add_u32 s20, s57, s20                                    // 00000000D418: 80141439
	s_addc_u32 s21, 0, s21                                     // 00000000D41C: 82151580
	s_add_u32 s28, s3, s28                                     // 00000000D420: 801C1C03
	s_addc_u32 s29, 0, s29                                     // 00000000D424: 821D1D80
	v_mfma_f32_16x16x32_fp8_fp8 v[12:15], a[138:139], a[90:91], v[12:15]// 00000000D428: D3F3000C 1C32B58A
	s_add_u32 s84, s83, s84                                    // 00000000D430: 80545453
	s_addc_u32 s85, 0, s85                                     // 00000000D434: 82555580
	v_mfma_f32_16x16x32_fp8_fp8 v[12:15], a[140:141], a[92:93], v[12:15]// 00000000D438: D3F3000C 1C32B98C
	s_add_u32 s32, s4, s32                                     // 00000000D440: 80202004
	s_addc_u32 s33, 0, s33                                     // 00000000D444: 82212180
	v_mfma_f32_16x16x32_fp8_fp8 v[12:15], a[142:143], a[94:95], v[12:15]// 00000000D448: D3F3000C 1C32BD8E
	v_fma_f32 v136, v8, v6, v136                               // 00000000D450: D1CB0088 06220D08
	v_fma_f32 v137, v9, v6, v137                               // 00000000D458: D1CB0089 06260D09
	v_fma_f32 v138, v10, v6, v138                              // 00000000D460: D1CB008A 062A0D0A
	v_fma_f32 v139, v11, v6, v139                              // 00000000D468: D1CB008B 062E0D0B
	v_fma_f32 v160, v12, v6, v160                              // 00000000D470: D1CB00A0 06820D0C
	v_fma_f32 v161, v13, v6, v161                              // 00000000D478: D1CB00A1 06860D0D
	v_fma_f32 v162, v14, v6, v162                              // 00000000D480: D1CB00A2 068A0D0E
	v_fma_f32 v163, v15, v6, v163                              // 00000000D488: D1CB00A3 068E0D0F
	s_addk_i32 s80, 0x80                                       // 00000000D490: B7500080
	s_cmp_lt_i32 s80, s81                                      // 00000000D494: BF045150
	s_cbranch_scc0 label_2AAB                                  // 00000000D498: BF840001
	s_branch label_1DFC                                        // 00000000D49C: BF82F351

000000000000d4a0 <label_2AAB>:
	s_cmp_eq_u32 s88, 0                                        // 00000000D4A0: BF068058
	s_cbranch_scc0 label_32C6                                  // 00000000D4A4: BF840819
	s_cmp_eq_u32 s89, 0                                        // 00000000D4A8: BF068059
	s_cbranch_scc1 label_2C94                                  // 00000000D4AC: BF8501E5
	v_mov_b32_e32 v8, v1                                       // 00000000D4B0: 7E100301
	v_mov_b32_e32 v9, v1                                       // 00000000D4B4: 7E120301
	s_mov_b32 s60, s6                                          // 00000000D4B8: BEBC0006
	s_mov_b32 s61, s6                                          // 00000000D4BC: BEBD0006
	v_pk_mul_f32 v[4:5], v[68:69], v[68:69]                    // 00000000D4C0: D3B14004 18028944
	v_pk_mul_f32 v[6:7], v[70:71], v[70:71]                    // 00000000D4C8: D3B14006 18028D46
	v_pk_fma_f32 v[4:5], v[4:5], s[78:79], v[8:9]              // 00000000D4D0: D3B04004 1C209D04
	v_pk_fma_f32 v[6:7], v[6:7], s[78:79], v[8:9]              // 00000000D4D8: D3B04006 1C209D06
	v_pk_mul_f32 v[4:5], v[4:5], v[68:69]                      // 00000000D4E0: D3B14004 18028904
	v_pk_mul_f32 v[6:7], v[6:7], v[70:71]                      // 00000000D4E8: D3B14006 18028D06
	v_pk_mul_f32 v[4:5], v[4:5], s[60:61]                      // 00000000D4F0: D3B14004 18007904
	v_pk_mul_f32 v[6:7], v[6:7], s[60:61]                      // 00000000D4F8: D3B14006 18007906
	v_exp_f32_e32 v4, v4                                       // 00000000D500: 7E084104
	v_exp_f32_e32 v5, v5                                       // 00000000D504: 7E0A4105
	v_exp_f32_e32 v6, v6                                       // 00000000D508: 7E0C4106
	v_exp_f32_e32 v7, v7                                       // 00000000D50C: 7E0E4107
	v_add_f32_e64 v4, v4, 1.0                                  // 00000000D510: D1010004 0001E504
	v_add_f32_e64 v5, v5, 1.0                                  // 00000000D518: D1010005 0001E505
	v_add_f32_e64 v6, v6, 1.0                                  // 00000000D520: D1010006 0001E506
	v_add_f32_e64 v7, v7, 1.0                                  // 00000000D528: D1010007 0001E507
	v_rcp_f32_e32 v4, v4                                       // 00000000D530: 7E084504
	v_rcp_f32_e32 v5, v5                                       // 00000000D534: 7E0A4505
	v_rcp_f32_e32 v6, v6                                       // 00000000D538: 7E0C4506
	v_rcp_f32_e32 v7, v7                                       // 00000000D53C: 7E0E4507
	v_mul_f32_e32 v68, v68, v4                                 // 00000000D540: 0A880944
	v_mul_f32_e32 v69, v69, v5                                 // 00000000D544: 0A8A0B45
	v_mul_f32_e32 v70, v70, v6                                 // 00000000D548: 0A8C0D46
	v_mul_f32_e32 v71, v71, v7                                 // 00000000D54C: 0A8E0F47
	v_mul_f32_e32 v68, v68, v116                               // 00000000D550: 0A88E944
	v_mul_f32_e32 v69, v69, v117                               // 00000000D554: 0A8AEB45
	v_mul_f32_e32 v70, v70, v118                               // 00000000D558: 0A8CED46
	v_mul_f32_e32 v71, v71, v119                               // 00000000D55C: 0A8EEF47
	v_pk_mul_f32 v[4:5], v[72:73], v[72:73]                    // 00000000D560: D3B14004 18029148
	v_pk_mul_f32 v[6:7], v[74:75], v[74:75]                    // 00000000D568: D3B14006 1802954A
	v_pk_fma_f32 v[4:5], v[4:5], s[78:79], v[8:9]              // 00000000D570: D3B04004 1C209D04
	v_pk_fma_f32 v[6:7], v[6:7], s[78:79], v[8:9]              // 00000000D578: D3B04006 1C209D06
	v_pk_mul_f32 v[4:5], v[4:5], v[72:73]                      // 00000000D580: D3B14004 18029104
	v_pk_mul_f32 v[6:7], v[6:7], v[74:75]                      // 00000000D588: D3B14006 18029506
	v_pk_mul_f32 v[4:5], v[4:5], s[60:61]                      // 00000000D590: D3B14004 18007904
	v_pk_mul_f32 v[6:7], v[6:7], s[60:61]                      // 00000000D598: D3B14006 18007906
	v_exp_f32_e32 v4, v4                                       // 00000000D5A0: 7E084104
	v_exp_f32_e32 v5, v5                                       // 00000000D5A4: 7E0A4105
	v_exp_f32_e32 v6, v6                                       // 00000000D5A8: 7E0C4106
	v_exp_f32_e32 v7, v7                                       // 00000000D5AC: 7E0E4107
	v_add_f32_e64 v4, v4, 1.0                                  // 00000000D5B0: D1010004 0001E504
	v_add_f32_e64 v5, v5, 1.0                                  // 00000000D5B8: D1010005 0001E505
	v_add_f32_e64 v6, v6, 1.0                                  // 00000000D5C0: D1010006 0001E506
	v_add_f32_e64 v7, v7, 1.0                                  // 00000000D5C8: D1010007 0001E507
	v_rcp_f32_e32 v4, v4                                       // 00000000D5D0: 7E084504
	v_rcp_f32_e32 v5, v5                                       // 00000000D5D4: 7E0A4505
	v_rcp_f32_e32 v6, v6                                       // 00000000D5D8: 7E0C4506
	v_rcp_f32_e32 v7, v7                                       // 00000000D5DC: 7E0E4507
	v_mul_f32_e32 v72, v72, v4                                 // 00000000D5E0: 0A900948
	v_mul_f32_e32 v73, v73, v5                                 // 00000000D5E4: 0A920B49
	v_mul_f32_e32 v74, v74, v6                                 // 00000000D5E8: 0A940D4A
	v_mul_f32_e32 v75, v75, v7                                 // 00000000D5EC: 0A960F4B
	v_mul_f32_e32 v72, v72, v120                               // 00000000D5F0: 0A90F148
	v_mul_f32_e32 v73, v73, v121                               // 00000000D5F4: 0A92F349
	v_mul_f32_e32 v74, v74, v122                               // 00000000D5F8: 0A94F54A
	v_mul_f32_e32 v75, v75, v123                               // 00000000D5FC: 0A96F74B
	v_pk_mul_f32 v[4:5], v[76:77], v[76:77]                    // 00000000D600: D3B14004 1802994C
	v_pk_mul_f32 v[6:7], v[78:79], v[78:79]                    // 00000000D608: D3B14006 18029D4E
	v_pk_fma_f32 v[4:5], v[4:5], s[78:79], v[8:9]              // 00000000D610: D3B04004 1C209D04
	v_pk_fma_f32 v[6:7], v[6:7], s[78:79], v[8:9]              // 00000000D618: D3B04006 1C209D06
	v_pk_mul_f32 v[4:5], v[4:5], v[76:77]                      // 00000000D620: D3B14004 18029904
	v_pk_mul_f32 v[6:7], v[6:7], v[78:79]                      // 00000000D628: D3B14006 18029D06
	v_pk_mul_f32 v[4:5], v[4:5], s[60:61]                      // 00000000D630: D3B14004 18007904
	v_pk_mul_f32 v[6:7], v[6:7], s[60:61]                      // 00000000D638: D3B14006 18007906
	v_exp_f32_e32 v4, v4                                       // 00000000D640: 7E084104
	v_exp_f32_e32 v5, v5                                       // 00000000D644: 7E0A4105
	v_exp_f32_e32 v6, v6                                       // 00000000D648: 7E0C4106
	v_exp_f32_e32 v7, v7                                       // 00000000D64C: 7E0E4107
	v_add_f32_e64 v4, v4, 1.0                                  // 00000000D650: D1010004 0001E504
	v_add_f32_e64 v5, v5, 1.0                                  // 00000000D658: D1010005 0001E505
	v_add_f32_e64 v6, v6, 1.0                                  // 00000000D660: D1010006 0001E506
	v_add_f32_e64 v7, v7, 1.0                                  // 00000000D668: D1010007 0001E507
	v_rcp_f32_e32 v4, v4                                       // 00000000D670: 7E084504
	v_rcp_f32_e32 v5, v5                                       // 00000000D674: 7E0A4505
	v_rcp_f32_e32 v6, v6                                       // 00000000D678: 7E0C4506
	v_rcp_f32_e32 v7, v7                                       // 00000000D67C: 7E0E4507
	v_mul_f32_e32 v76, v76, v4                                 // 00000000D680: 0A98094C
	v_mul_f32_e32 v77, v77, v5                                 // 00000000D684: 0A9A0B4D
	v_mul_f32_e32 v78, v78, v6                                 // 00000000D688: 0A9C0D4E
	v_mul_f32_e32 v79, v79, v7                                 // 00000000D68C: 0A9E0F4F
	v_mul_f32_e32 v76, v76, v124                               // 00000000D690: 0A98F94C
	v_mul_f32_e32 v77, v77, v125                               // 00000000D694: 0A9AFB4D
	v_mul_f32_e32 v78, v78, v126                               // 00000000D698: 0A9CFD4E
	v_mul_f32_e32 v79, v79, v127                               // 00000000D69C: 0A9EFF4F
	v_pk_mul_f32 v[4:5], v[80:81], v[80:81]                    // 00000000D6A0: D3B14004 1802A150
	v_pk_mul_f32 v[6:7], v[82:83], v[82:83]                    // 00000000D6A8: D3B14006 1802A552
	v_pk_fma_f32 v[4:5], v[4:5], s[78:79], v[8:9]              // 00000000D6B0: D3B04004 1C209D04
	v_pk_fma_f32 v[6:7], v[6:7], s[78:79], v[8:9]              // 00000000D6B8: D3B04006 1C209D06
	v_pk_mul_f32 v[4:5], v[4:5], v[80:81]                      // 00000000D6C0: D3B14004 1802A104
	v_pk_mul_f32 v[6:7], v[6:7], v[82:83]                      // 00000000D6C8: D3B14006 1802A506
	v_pk_mul_f32 v[4:5], v[4:5], s[60:61]                      // 00000000D6D0: D3B14004 18007904
	v_pk_mul_f32 v[6:7], v[6:7], s[60:61]                      // 00000000D6D8: D3B14006 18007906
	v_exp_f32_e32 v4, v4                                       // 00000000D6E0: 7E084104
	v_exp_f32_e32 v5, v5                                       // 00000000D6E4: 7E0A4105
	v_exp_f32_e32 v6, v6                                       // 00000000D6E8: 7E0C4106
	v_exp_f32_e32 v7, v7                                       // 00000000D6EC: 7E0E4107
	v_add_f32_e64 v4, v4, 1.0                                  // 00000000D6F0: D1010004 0001E504
	v_add_f32_e64 v5, v5, 1.0                                  // 00000000D6F8: D1010005 0001E505
	v_add_f32_e64 v6, v6, 1.0                                  // 00000000D700: D1010006 0001E506
	v_add_f32_e64 v7, v7, 1.0                                  // 00000000D708: D1010007 0001E507
	v_rcp_f32_e32 v4, v4                                       // 00000000D710: 7E084504
	v_rcp_f32_e32 v5, v5                                       // 00000000D714: 7E0A4505
	v_rcp_f32_e32 v6, v6                                       // 00000000D718: 7E0C4506
	v_rcp_f32_e32 v7, v7                                       // 00000000D71C: 7E0E4507
	v_mul_f32_e32 v80, v80, v4                                 // 00000000D720: 0AA00950
	v_mul_f32_e32 v81, v81, v5                                 // 00000000D724: 0AA20B51
	v_mul_f32_e32 v82, v82, v6                                 // 00000000D728: 0AA40D52
	v_mul_f32_e32 v83, v83, v7                                 // 00000000D72C: 0AA60F53
	v_mul_f32_e32 v80, v80, v128                               // 00000000D730: 0AA10150
	v_mul_f32_e32 v81, v81, v129                               // 00000000D734: 0AA30351
	v_mul_f32_e32 v82, v82, v130                               // 00000000D738: 0AA50552
	v_mul_f32_e32 v83, v83, v131                               // 00000000D73C: 0AA70753
	v_pk_mul_f32 v[4:5], v[84:85], v[84:85]                    // 00000000D740: D3B14004 1802A954
	v_pk_mul_f32 v[6:7], v[86:87], v[86:87]                    // 00000000D748: D3B14006 1802AD56
	v_pk_fma_f32 v[4:5], v[4:5], s[78:79], v[8:9]              // 00000000D750: D3B04004 1C209D04
	v_pk_fma_f32 v[6:7], v[6:7], s[78:79], v[8:9]              // 00000000D758: D3B04006 1C209D06
	v_pk_mul_f32 v[4:5], v[4:5], v[84:85]                      // 00000000D760: D3B14004 1802A904
	v_pk_mul_f32 v[6:7], v[6:7], v[86:87]                      // 00000000D768: D3B14006 1802AD06
	v_pk_mul_f32 v[4:5], v[4:5], s[60:61]                      // 00000000D770: D3B14004 18007904
	v_pk_mul_f32 v[6:7], v[6:7], s[60:61]                      // 00000000D778: D3B14006 18007906
	v_exp_f32_e32 v4, v4                                       // 00000000D780: 7E084104
	v_exp_f32_e32 v5, v5                                       // 00000000D784: 7E0A4105
	v_exp_f32_e32 v6, v6                                       // 00000000D788: 7E0C4106
	v_exp_f32_e32 v7, v7                                       // 00000000D78C: 7E0E4107
	v_add_f32_e64 v4, v4, 1.0                                  // 00000000D790: D1010004 0001E504
	v_add_f32_e64 v5, v5, 1.0                                  // 00000000D798: D1010005 0001E505
	v_add_f32_e64 v6, v6, 1.0                                  // 00000000D7A0: D1010006 0001E506
	v_add_f32_e64 v7, v7, 1.0                                  // 00000000D7A8: D1010007 0001E507
	v_rcp_f32_e32 v4, v4                                       // 00000000D7B0: 7E084504
	v_rcp_f32_e32 v5, v5                                       // 00000000D7B4: 7E0A4505
	v_rcp_f32_e32 v6, v6                                       // 00000000D7B8: 7E0C4506
	v_rcp_f32_e32 v7, v7                                       // 00000000D7BC: 7E0E4507
	v_mul_f32_e32 v84, v84, v4                                 // 00000000D7C0: 0AA80954
	v_mul_f32_e32 v85, v85, v5                                 // 00000000D7C4: 0AAA0B55
	v_mul_f32_e32 v86, v86, v6                                 // 00000000D7C8: 0AAC0D56
	v_mul_f32_e32 v87, v87, v7                                 // 00000000D7CC: 0AAE0F57
	v_mul_f32_e32 v84, v84, v132                               // 00000000D7D0: 0AA90954
	v_mul_f32_e32 v85, v85, v133                               // 00000000D7D4: 0AAB0B55
	v_mul_f32_e32 v86, v86, v134                               // 00000000D7D8: 0AAD0D56
	v_mul_f32_e32 v87, v87, v135                               // 00000000D7DC: 0AAF0F57
	v_pk_mul_f32 v[4:5], v[88:89], v[88:89]                    // 00000000D7E0: D3B14004 1802B158
	v_pk_mul_f32 v[6:7], v[90:91], v[90:91]                    // 00000000D7E8: D3B14006 1802B55A
	v_pk_fma_f32 v[4:5], v[4:5], s[78:79], v[8:9]              // 00000000D7F0: D3B04004 1C209D04
	v_pk_fma_f32 v[6:7], v[6:7], s[78:79], v[8:9]              // 00000000D7F8: D3B04006 1C209D06
	v_pk_mul_f32 v[4:5], v[4:5], v[88:89]                      // 00000000D800: D3B14004 1802B104
	v_pk_mul_f32 v[6:7], v[6:7], v[90:91]                      // 00000000D808: D3B14006 1802B506
	v_pk_mul_f32 v[4:5], v[4:5], s[60:61]                      // 00000000D810: D3B14004 18007904
	v_pk_mul_f32 v[6:7], v[6:7], s[60:61]                      // 00000000D818: D3B14006 18007906
	v_exp_f32_e32 v4, v4                                       // 00000000D820: 7E084104
	v_exp_f32_e32 v5, v5                                       // 00000000D824: 7E0A4105
	v_exp_f32_e32 v6, v6                                       // 00000000D828: 7E0C4106
	v_exp_f32_e32 v7, v7                                       // 00000000D82C: 7E0E4107
	v_add_f32_e64 v4, v4, 1.0                                  // 00000000D830: D1010004 0001E504
	v_add_f32_e64 v5, v5, 1.0                                  // 00000000D838: D1010005 0001E505
	v_add_f32_e64 v6, v6, 1.0                                  // 00000000D840: D1010006 0001E506
	v_add_f32_e64 v7, v7, 1.0                                  // 00000000D848: D1010007 0001E507
	v_rcp_f32_e32 v4, v4                                       // 00000000D850: 7E084504
	v_rcp_f32_e32 v5, v5                                       // 00000000D854: 7E0A4505
	v_rcp_f32_e32 v6, v6                                       // 00000000D858: 7E0C4506
	v_rcp_f32_e32 v7, v7                                       // 00000000D85C: 7E0E4507
	v_mul_f32_e32 v88, v88, v4                                 // 00000000D860: 0AB00958
	v_mul_f32_e32 v89, v89, v5                                 // 00000000D864: 0AB20B59
	v_mul_f32_e32 v90, v90, v6                                 // 00000000D868: 0AB40D5A
	v_mul_f32_e32 v91, v91, v7                                 // 00000000D86C: 0AB60F5B
	v_mul_f32_e32 v88, v88, v136                               // 00000000D870: 0AB11158
	v_mul_f32_e32 v89, v89, v137                               // 00000000D874: 0AB31359
	v_mul_f32_e32 v90, v90, v138                               // 00000000D878: 0AB5155A
	v_mul_f32_e32 v91, v91, v139                               // 00000000D87C: 0AB7175B
	v_pk_mul_f32 v[4:5], v[92:93], v[92:93]                    // 00000000D880: D3B14004 1802B95C
	v_pk_mul_f32 v[6:7], v[94:95], v[94:95]                    // 00000000D888: D3B14006 1802BD5E
	v_pk_fma_f32 v[4:5], v[4:5], s[78:79], v[8:9]              // 00000000D890: D3B04004 1C209D04
	v_pk_fma_f32 v[6:7], v[6:7], s[78:79], v[8:9]              // 00000000D898: D3B04006 1C209D06
	v_pk_mul_f32 v[4:5], v[4:5], v[92:93]                      // 00000000D8A0: D3B14004 1802B904
	v_pk_mul_f32 v[6:7], v[6:7], v[94:95]                      // 00000000D8A8: D3B14006 1802BD06
	v_pk_mul_f32 v[4:5], v[4:5], s[60:61]                      // 00000000D8B0: D3B14004 18007904
	v_pk_mul_f32 v[6:7], v[6:7], s[60:61]                      // 00000000D8B8: D3B14006 18007906
	v_exp_f32_e32 v4, v4                                       // 00000000D8C0: 7E084104
	v_exp_f32_e32 v5, v5                                       // 00000000D8C4: 7E0A4105
	v_exp_f32_e32 v6, v6                                       // 00000000D8C8: 7E0C4106
	v_exp_f32_e32 v7, v7                                       // 00000000D8CC: 7E0E4107
	v_add_f32_e64 v4, v4, 1.0                                  // 00000000D8D0: D1010004 0001E504
	v_add_f32_e64 v5, v5, 1.0                                  // 00000000D8D8: D1010005 0001E505
	v_add_f32_e64 v6, v6, 1.0                                  // 00000000D8E0: D1010006 0001E506
	v_add_f32_e64 v7, v7, 1.0                                  // 00000000D8E8: D1010007 0001E507
	v_rcp_f32_e32 v4, v4                                       // 00000000D8F0: 7E084504
	v_rcp_f32_e32 v5, v5                                       // 00000000D8F4: 7E0A4505
	v_rcp_f32_e32 v6, v6                                       // 00000000D8F8: 7E0C4506
	v_rcp_f32_e32 v7, v7                                       // 00000000D8FC: 7E0E4507
	v_mul_f32_e32 v92, v92, v4                                 // 00000000D900: 0AB8095C
	v_mul_f32_e32 v93, v93, v5                                 // 00000000D904: 0ABA0B5D
	v_mul_f32_e32 v94, v94, v6                                 // 00000000D908: 0ABC0D5E
	v_mul_f32_e32 v95, v95, v7                                 // 00000000D90C: 0ABE0F5F
	v_mul_f32_e32 v92, v92, v140                               // 00000000D910: 0AB9195C
	v_mul_f32_e32 v93, v93, v141                               // 00000000D914: 0ABB1B5D
	v_mul_f32_e32 v94, v94, v142                               // 00000000D918: 0ABD1D5E
	v_mul_f32_e32 v95, v95, v143                               // 00000000D91C: 0ABF1F5F
	v_pk_mul_f32 v[4:5], v[96:97], v[96:97]                    // 00000000D920: D3B14004 1802C160
	v_pk_mul_f32 v[6:7], v[98:99], v[98:99]                    // 00000000D928: D3B14006 1802C562
	v_pk_fma_f32 v[4:5], v[4:5], s[78:79], v[8:9]              // 00000000D930: D3B04004 1C209D04
	v_pk_fma_f32 v[6:7], v[6:7], s[78:79], v[8:9]              // 00000000D938: D3B04006 1C209D06
	v_pk_mul_f32 v[4:5], v[4:5], v[96:97]                      // 00000000D940: D3B14004 1802C104
	v_pk_mul_f32 v[6:7], v[6:7], v[98:99]                      // 00000000D948: D3B14006 1802C506
	v_pk_mul_f32 v[4:5], v[4:5], s[60:61]                      // 00000000D950: D3B14004 18007904
	v_pk_mul_f32 v[6:7], v[6:7], s[60:61]                      // 00000000D958: D3B14006 18007906
	v_exp_f32_e32 v4, v4                                       // 00000000D960: 7E084104
	v_exp_f32_e32 v5, v5                                       // 00000000D964: 7E0A4105
	v_exp_f32_e32 v6, v6                                       // 00000000D968: 7E0C4106
	v_exp_f32_e32 v7, v7                                       // 00000000D96C: 7E0E4107
	v_add_f32_e64 v4, v4, 1.0                                  // 00000000D970: D1010004 0001E504
	v_add_f32_e64 v5, v5, 1.0                                  // 00000000D978: D1010005 0001E505
	v_add_f32_e64 v6, v6, 1.0                                  // 00000000D980: D1010006 0001E506
	v_add_f32_e64 v7, v7, 1.0                                  // 00000000D988: D1010007 0001E507
	v_rcp_f32_e32 v4, v4                                       // 00000000D990: 7E084504
	v_rcp_f32_e32 v5, v5                                       // 00000000D994: 7E0A4505
	v_rcp_f32_e32 v6, v6                                       // 00000000D998: 7E0C4506
	v_rcp_f32_e32 v7, v7                                       // 00000000D99C: 7E0E4507
	v_mul_f32_e32 v96, v96, v4                                 // 00000000D9A0: 0AC00960
	v_mul_f32_e32 v97, v97, v5                                 // 00000000D9A4: 0AC20B61
	v_mul_f32_e32 v98, v98, v6                                 // 00000000D9A8: 0AC40D62
	v_mul_f32_e32 v99, v99, v7                                 // 00000000D9AC: 0AC60F63
	v_mul_f32_e32 v96, v96, v144                               // 00000000D9B0: 0AC12160
	v_mul_f32_e32 v97, v97, v145                               // 00000000D9B4: 0AC32361
	v_mul_f32_e32 v98, v98, v146                               // 00000000D9B8: 0AC52562
	v_mul_f32_e32 v99, v99, v147                               // 00000000D9BC: 0AC72763
	v_pk_mul_f32 v[4:5], v[100:101], v[100:101]                // 00000000D9C0: D3B14004 1802C964
	v_pk_mul_f32 v[6:7], v[102:103], v[102:103]                // 00000000D9C8: D3B14006 1802CD66
	v_pk_fma_f32 v[4:5], v[4:5], s[78:79], v[8:9]              // 00000000D9D0: D3B04004 1C209D04
	v_pk_fma_f32 v[6:7], v[6:7], s[78:79], v[8:9]              // 00000000D9D8: D3B04006 1C209D06
	v_pk_mul_f32 v[4:5], v[4:5], v[100:101]                    // 00000000D9E0: D3B14004 1802C904
	v_pk_mul_f32 v[6:7], v[6:7], v[102:103]                    // 00000000D9E8: D3B14006 1802CD06
	v_pk_mul_f32 v[4:5], v[4:5], s[60:61]                      // 00000000D9F0: D3B14004 18007904
	v_pk_mul_f32 v[6:7], v[6:7], s[60:61]                      // 00000000D9F8: D3B14006 18007906
	v_exp_f32_e32 v4, v4                                       // 00000000DA00: 7E084104
	v_exp_f32_e32 v5, v5                                       // 00000000DA04: 7E0A4105
	v_exp_f32_e32 v6, v6                                       // 00000000DA08: 7E0C4106
	v_exp_f32_e32 v7, v7                                       // 00000000DA0C: 7E0E4107
	v_add_f32_e64 v4, v4, 1.0                                  // 00000000DA10: D1010004 0001E504
	v_add_f32_e64 v5, v5, 1.0                                  // 00000000DA18: D1010005 0001E505
	v_add_f32_e64 v6, v6, 1.0                                  // 00000000DA20: D1010006 0001E506
	v_add_f32_e64 v7, v7, 1.0                                  // 00000000DA28: D1010007 0001E507
	v_rcp_f32_e32 v4, v4                                       // 00000000DA30: 7E084504
	v_rcp_f32_e32 v5, v5                                       // 00000000DA34: 7E0A4505
	v_rcp_f32_e32 v6, v6                                       // 00000000DA38: 7E0C4506
	v_rcp_f32_e32 v7, v7                                       // 00000000DA3C: 7E0E4507
	v_mul_f32_e32 v100, v100, v4                               // 00000000DA40: 0AC80964
	v_mul_f32_e32 v101, v101, v5                               // 00000000DA44: 0ACA0B65
	v_mul_f32_e32 v102, v102, v6                               // 00000000DA48: 0ACC0D66
	v_mul_f32_e32 v103, v103, v7                               // 00000000DA4C: 0ACE0F67
	v_mul_f32_e32 v100, v100, v148                             // 00000000DA50: 0AC92964
	v_mul_f32_e32 v101, v101, v149                             // 00000000DA54: 0ACB2B65
	v_mul_f32_e32 v102, v102, v150                             // 00000000DA58: 0ACD2D66
	v_mul_f32_e32 v103, v103, v151                             // 00000000DA5C: 0ACF2F67
	v_pk_mul_f32 v[4:5], v[104:105], v[104:105]                // 00000000DA60: D3B14004 1802D168
	v_pk_mul_f32 v[6:7], v[106:107], v[106:107]                // 00000000DA68: D3B14006 1802D56A
	v_pk_fma_f32 v[4:5], v[4:5], s[78:79], v[8:9]              // 00000000DA70: D3B04004 1C209D04
	v_pk_fma_f32 v[6:7], v[6:7], s[78:79], v[8:9]              // 00000000DA78: D3B04006 1C209D06
	v_pk_mul_f32 v[4:5], v[4:5], v[104:105]                    // 00000000DA80: D3B14004 1802D104
	v_pk_mul_f32 v[6:7], v[6:7], v[106:107]                    // 00000000DA88: D3B14006 1802D506
	v_pk_mul_f32 v[4:5], v[4:5], s[60:61]                      // 00000000DA90: D3B14004 18007904
	v_pk_mul_f32 v[6:7], v[6:7], s[60:61]                      // 00000000DA98: D3B14006 18007906
	v_exp_f32_e32 v4, v4                                       // 00000000DAA0: 7E084104
	v_exp_f32_e32 v5, v5                                       // 00000000DAA4: 7E0A4105
	v_exp_f32_e32 v6, v6                                       // 00000000DAA8: 7E0C4106
	v_exp_f32_e32 v7, v7                                       // 00000000DAAC: 7E0E4107
	v_add_f32_e64 v4, v4, 1.0                                  // 00000000DAB0: D1010004 0001E504
	v_add_f32_e64 v5, v5, 1.0                                  // 00000000DAB8: D1010005 0001E505
	v_add_f32_e64 v6, v6, 1.0                                  // 00000000DAC0: D1010006 0001E506
	v_add_f32_e64 v7, v7, 1.0                                  // 00000000DAC8: D1010007 0001E507
	v_rcp_f32_e32 v4, v4                                       // 00000000DAD0: 7E084504
	v_rcp_f32_e32 v5, v5                                       // 00000000DAD4: 7E0A4505
	v_rcp_f32_e32 v6, v6                                       // 00000000DAD8: 7E0C4506
	v_rcp_f32_e32 v7, v7                                       // 00000000DADC: 7E0E4507
	v_mul_f32_e32 v104, v104, v4                               // 00000000DAE0: 0AD00968
	v_mul_f32_e32 v105, v105, v5                               // 00000000DAE4: 0AD20B69
	v_mul_f32_e32 v106, v106, v6                               // 00000000DAE8: 0AD40D6A
	v_mul_f32_e32 v107, v107, v7                               // 00000000DAEC: 0AD60F6B
	v_mul_f32_e32 v104, v104, v152                             // 00000000DAF0: 0AD13168
	v_mul_f32_e32 v105, v105, v153                             // 00000000DAF4: 0AD33369
	v_mul_f32_e32 v106, v106, v154                             // 00000000DAF8: 0AD5356A
	v_mul_f32_e32 v107, v107, v155                             // 00000000DAFC: 0AD7376B
	v_pk_mul_f32 v[4:5], v[108:109], v[108:109]                // 00000000DB00: D3B14004 1802D96C
	v_pk_mul_f32 v[6:7], v[110:111], v[110:111]                // 00000000DB08: D3B14006 1802DD6E
	v_pk_fma_f32 v[4:5], v[4:5], s[78:79], v[8:9]              // 00000000DB10: D3B04004 1C209D04
	v_pk_fma_f32 v[6:7], v[6:7], s[78:79], v[8:9]              // 00000000DB18: D3B04006 1C209D06
	v_pk_mul_f32 v[4:5], v[4:5], v[108:109]                    // 00000000DB20: D3B14004 1802D904
	v_pk_mul_f32 v[6:7], v[6:7], v[110:111]                    // 00000000DB28: D3B14006 1802DD06
	v_pk_mul_f32 v[4:5], v[4:5], s[60:61]                      // 00000000DB30: D3B14004 18007904
	v_pk_mul_f32 v[6:7], v[6:7], s[60:61]                      // 00000000DB38: D3B14006 18007906
	v_exp_f32_e32 v4, v4                                       // 00000000DB40: 7E084104
	v_exp_f32_e32 v5, v5                                       // 00000000DB44: 7E0A4105
	v_exp_f32_e32 v6, v6                                       // 00000000DB48: 7E0C4106
	v_exp_f32_e32 v7, v7                                       // 00000000DB4C: 7E0E4107
	v_add_f32_e64 v4, v4, 1.0                                  // 00000000DB50: D1010004 0001E504
	v_add_f32_e64 v5, v5, 1.0                                  // 00000000DB58: D1010005 0001E505
	v_add_f32_e64 v6, v6, 1.0                                  // 00000000DB60: D1010006 0001E506
	v_add_f32_e64 v7, v7, 1.0                                  // 00000000DB68: D1010007 0001E507
	v_rcp_f32_e32 v4, v4                                       // 00000000DB70: 7E084504
	v_rcp_f32_e32 v5, v5                                       // 00000000DB74: 7E0A4505
	v_rcp_f32_e32 v6, v6                                       // 00000000DB78: 7E0C4506
	v_rcp_f32_e32 v7, v7                                       // 00000000DB7C: 7E0E4507
	v_mul_f32_e32 v108, v108, v4                               // 00000000DB80: 0AD8096C
	v_mul_f32_e32 v109, v109, v5                               // 00000000DB84: 0ADA0B6D
	v_mul_f32_e32 v110, v110, v6                               // 00000000DB88: 0ADC0D6E
	v_mul_f32_e32 v111, v111, v7                               // 00000000DB8C: 0ADE0F6F
	v_mul_f32_e32 v108, v108, v156                             // 00000000DB90: 0AD9396C
	v_mul_f32_e32 v109, v109, v157                             // 00000000DB94: 0ADB3B6D
	v_mul_f32_e32 v110, v110, v158                             // 00000000DB98: 0ADD3D6E
	v_mul_f32_e32 v111, v111, v159                             // 00000000DB9C: 0ADF3F6F
	v_pk_mul_f32 v[4:5], v[112:113], v[112:113]                // 00000000DBA0: D3B14004 1802E170
	v_pk_mul_f32 v[6:7], v[114:115], v[114:115]                // 00000000DBA8: D3B14006 1802E572
	v_pk_fma_f32 v[4:5], v[4:5], s[78:79], v[8:9]              // 00000000DBB0: D3B04004 1C209D04
	v_pk_fma_f32 v[6:7], v[6:7], s[78:79], v[8:9]              // 00000000DBB8: D3B04006 1C209D06
	v_pk_mul_f32 v[4:5], v[4:5], v[112:113]                    // 00000000DBC0: D3B14004 1802E104
	v_pk_mul_f32 v[6:7], v[6:7], v[114:115]                    // 00000000DBC8: D3B14006 1802E506
	v_pk_mul_f32 v[4:5], v[4:5], s[60:61]                      // 00000000DBD0: D3B14004 18007904
	v_pk_mul_f32 v[6:7], v[6:7], s[60:61]                      // 00000000DBD8: D3B14006 18007906
	v_exp_f32_e32 v4, v4                                       // 00000000DBE0: 7E084104
	v_exp_f32_e32 v5, v5                                       // 00000000DBE4: 7E0A4105
	v_exp_f32_e32 v6, v6                                       // 00000000DBE8: 7E0C4106
	v_exp_f32_e32 v7, v7                                       // 00000000DBEC: 7E0E4107
	v_add_f32_e64 v4, v4, 1.0                                  // 00000000DBF0: D1010004 0001E504
	v_add_f32_e64 v5, v5, 1.0                                  // 00000000DBF8: D1010005 0001E505
	v_add_f32_e64 v6, v6, 1.0                                  // 00000000DC00: D1010006 0001E506
	v_add_f32_e64 v7, v7, 1.0                                  // 00000000DC08: D1010007 0001E507
	v_rcp_f32_e32 v4, v4                                       // 00000000DC10: 7E084504
	v_rcp_f32_e32 v5, v5                                       // 00000000DC14: 7E0A4505
	v_rcp_f32_e32 v6, v6                                       // 00000000DC18: 7E0C4506
	v_rcp_f32_e32 v7, v7                                       // 00000000DC1C: 7E0E4507
	v_mul_f32_e32 v112, v112, v4                               // 00000000DC20: 0AE00970
	v_mul_f32_e32 v113, v113, v5                               // 00000000DC24: 0AE20B71
	v_mul_f32_e32 v114, v114, v6                               // 00000000DC28: 0AE40D72
	v_mul_f32_e32 v115, v115, v7                               // 00000000DC2C: 0AE60F73
	v_mul_f32_e32 v112, v112, v160                             // 00000000DC30: 0AE14170
	v_mul_f32_e32 v113, v113, v161                             // 00000000DC34: 0AE34371
	v_mul_f32_e32 v114, v114, v162                             // 00000000DC38: 0AE54572
	v_mul_f32_e32 v115, v115, v163                             // 00000000DC3C: 0AE74773
	s_branch label_2E14                                        // 00000000DC40: BF820180

000000000000dc44 <label_2C94>:
	v_mul_f32_e64 v4, -v68, s6                                 // 00000000DC44: D1050004 20000D44
	v_mul_f32_e64 v5, -v69, s6                                 // 00000000DC4C: D1050005 20000D45
	v_mul_f32_e64 v6, -v70, s6                                 // 00000000DC54: D1050006 20000D46
	v_mul_f32_e64 v7, -v71, s6                                 // 00000000DC5C: D1050007 20000D47
	v_exp_f32_e32 v4, v4                                       // 00000000DC64: 7E084104
	v_exp_f32_e32 v5, v5                                       // 00000000DC68: 7E0A4105
	v_exp_f32_e32 v6, v6                                       // 00000000DC6C: 7E0C4106
	v_exp_f32_e32 v7, v7                                       // 00000000DC70: 7E0E4107
	v_add_f32_e64 v4, v4, 1.0                                  // 00000000DC74: D1010004 0001E504
	v_add_f32_e64 v5, v5, 1.0                                  // 00000000DC7C: D1010005 0001E505
	v_add_f32_e64 v6, v6, 1.0                                  // 00000000DC84: D1010006 0001E506
	v_add_f32_e64 v7, v7, 1.0                                  // 00000000DC8C: D1010007 0001E507
	v_rcp_f32_e32 v4, v4                                       // 00000000DC94: 7E084504
	v_rcp_f32_e32 v5, v5                                       // 00000000DC98: 7E0A4505
	v_rcp_f32_e32 v6, v6                                       // 00000000DC9C: 7E0C4506
	v_rcp_f32_e32 v7, v7                                       // 00000000DCA0: 7E0E4507
	v_mul_f32_e32 v68, v68, v4                                 // 00000000DCA4: 0A880944
	v_mul_f32_e32 v69, v69, v5                                 // 00000000DCA8: 0A8A0B45
	v_mul_f32_e32 v70, v70, v6                                 // 00000000DCAC: 0A8C0D46
	v_mul_f32_e32 v71, v71, v7                                 // 00000000DCB0: 0A8E0F47
	v_mul_f32_e32 v68, v68, v116                               // 00000000DCB4: 0A88E944
	v_mul_f32_e32 v69, v69, v117                               // 00000000DCB8: 0A8AEB45
	v_mul_f32_e32 v70, v70, v118                               // 00000000DCBC: 0A8CED46
	v_mul_f32_e32 v71, v71, v119                               // 00000000DCC0: 0A8EEF47
	v_mul_f32_e64 v4, -v72, s6                                 // 00000000DCC4: D1050004 20000D48
	v_mul_f32_e64 v5, -v73, s6                                 // 00000000DCCC: D1050005 20000D49
	v_mul_f32_e64 v6, -v74, s6                                 // 00000000DCD4: D1050006 20000D4A
	v_mul_f32_e64 v7, -v75, s6                                 // 00000000DCDC: D1050007 20000D4B
	v_exp_f32_e32 v4, v4                                       // 00000000DCE4: 7E084104
	v_exp_f32_e32 v5, v5                                       // 00000000DCE8: 7E0A4105
	v_exp_f32_e32 v6, v6                                       // 00000000DCEC: 7E0C4106
	v_exp_f32_e32 v7, v7                                       // 00000000DCF0: 7E0E4107
	v_add_f32_e64 v4, v4, 1.0                                  // 00000000DCF4: D1010004 0001E504
	v_add_f32_e64 v5, v5, 1.0                                  // 00000000DCFC: D1010005 0001E505
	v_add_f32_e64 v6, v6, 1.0                                  // 00000000DD04: D1010006 0001E506
	v_add_f32_e64 v7, v7, 1.0                                  // 00000000DD0C: D1010007 0001E507
	v_rcp_f32_e32 v4, v4                                       // 00000000DD14: 7E084504
	v_rcp_f32_e32 v5, v5                                       // 00000000DD18: 7E0A4505
	v_rcp_f32_e32 v6, v6                                       // 00000000DD1C: 7E0C4506
	v_rcp_f32_e32 v7, v7                                       // 00000000DD20: 7E0E4507
	v_mul_f32_e32 v72, v72, v4                                 // 00000000DD24: 0A900948
	v_mul_f32_e32 v73, v73, v5                                 // 00000000DD28: 0A920B49
	v_mul_f32_e32 v74, v74, v6                                 // 00000000DD2C: 0A940D4A
	v_mul_f32_e32 v75, v75, v7                                 // 00000000DD30: 0A960F4B
	v_mul_f32_e32 v72, v72, v120                               // 00000000DD34: 0A90F148
	v_mul_f32_e32 v73, v73, v121                               // 00000000DD38: 0A92F349
	v_mul_f32_e32 v74, v74, v122                               // 00000000DD3C: 0A94F54A
	v_mul_f32_e32 v75, v75, v123                               // 00000000DD40: 0A96F74B
	v_mul_f32_e64 v4, -v76, s6                                 // 00000000DD44: D1050004 20000D4C
	v_mul_f32_e64 v5, -v77, s6                                 // 00000000DD4C: D1050005 20000D4D
	v_mul_f32_e64 v6, -v78, s6                                 // 00000000DD54: D1050006 20000D4E
	v_mul_f32_e64 v7, -v79, s6                                 // 00000000DD5C: D1050007 20000D4F
	v_exp_f32_e32 v4, v4                                       // 00000000DD64: 7E084104
	v_exp_f32_e32 v5, v5                                       // 00000000DD68: 7E0A4105
	v_exp_f32_e32 v6, v6                                       // 00000000DD6C: 7E0C4106
	v_exp_f32_e32 v7, v7                                       // 00000000DD70: 7E0E4107
	v_add_f32_e64 v4, v4, 1.0                                  // 00000000DD74: D1010004 0001E504
	v_add_f32_e64 v5, v5, 1.0                                  // 00000000DD7C: D1010005 0001E505
	v_add_f32_e64 v6, v6, 1.0                                  // 00000000DD84: D1010006 0001E506
	v_add_f32_e64 v7, v7, 1.0                                  // 00000000DD8C: D1010007 0001E507
	v_rcp_f32_e32 v4, v4                                       // 00000000DD94: 7E084504
	v_rcp_f32_e32 v5, v5                                       // 00000000DD98: 7E0A4505
	v_rcp_f32_e32 v6, v6                                       // 00000000DD9C: 7E0C4506
	v_rcp_f32_e32 v7, v7                                       // 00000000DDA0: 7E0E4507
	v_mul_f32_e32 v76, v76, v4                                 // 00000000DDA4: 0A98094C
	v_mul_f32_e32 v77, v77, v5                                 // 00000000DDA8: 0A9A0B4D
	v_mul_f32_e32 v78, v78, v6                                 // 00000000DDAC: 0A9C0D4E
	v_mul_f32_e32 v79, v79, v7                                 // 00000000DDB0: 0A9E0F4F
	v_mul_f32_e32 v76, v76, v124                               // 00000000DDB4: 0A98F94C
	v_mul_f32_e32 v77, v77, v125                               // 00000000DDB8: 0A9AFB4D
	v_mul_f32_e32 v78, v78, v126                               // 00000000DDBC: 0A9CFD4E
	v_mul_f32_e32 v79, v79, v127                               // 00000000DDC0: 0A9EFF4F
	v_mul_f32_e64 v4, -v80, s6                                 // 00000000DDC4: D1050004 20000D50
	v_mul_f32_e64 v5, -v81, s6                                 // 00000000DDCC: D1050005 20000D51
	v_mul_f32_e64 v6, -v82, s6                                 // 00000000DDD4: D1050006 20000D52
	v_mul_f32_e64 v7, -v83, s6                                 // 00000000DDDC: D1050007 20000D53
	v_exp_f32_e32 v4, v4                                       // 00000000DDE4: 7E084104
	v_exp_f32_e32 v5, v5                                       // 00000000DDE8: 7E0A4105
	v_exp_f32_e32 v6, v6                                       // 00000000DDEC: 7E0C4106
	v_exp_f32_e32 v7, v7                                       // 00000000DDF0: 7E0E4107
	v_add_f32_e64 v4, v4, 1.0                                  // 00000000DDF4: D1010004 0001E504
	v_add_f32_e64 v5, v5, 1.0                                  // 00000000DDFC: D1010005 0001E505
	v_add_f32_e64 v6, v6, 1.0                                  // 00000000DE04: D1010006 0001E506
	v_add_f32_e64 v7, v7, 1.0                                  // 00000000DE0C: D1010007 0001E507
	v_rcp_f32_e32 v4, v4                                       // 00000000DE14: 7E084504
	v_rcp_f32_e32 v5, v5                                       // 00000000DE18: 7E0A4505
	v_rcp_f32_e32 v6, v6                                       // 00000000DE1C: 7E0C4506
	v_rcp_f32_e32 v7, v7                                       // 00000000DE20: 7E0E4507
	v_mul_f32_e32 v80, v80, v4                                 // 00000000DE24: 0AA00950
	v_mul_f32_e32 v81, v81, v5                                 // 00000000DE28: 0AA20B51
	v_mul_f32_e32 v82, v82, v6                                 // 00000000DE2C: 0AA40D52
	v_mul_f32_e32 v83, v83, v7                                 // 00000000DE30: 0AA60F53
	v_mul_f32_e32 v80, v80, v128                               // 00000000DE34: 0AA10150
	v_mul_f32_e32 v81, v81, v129                               // 00000000DE38: 0AA30351
	v_mul_f32_e32 v82, v82, v130                               // 00000000DE3C: 0AA50552
	v_mul_f32_e32 v83, v83, v131                               // 00000000DE40: 0AA70753
	v_mul_f32_e64 v4, -v84, s6                                 // 00000000DE44: D1050004 20000D54
	v_mul_f32_e64 v5, -v85, s6                                 // 00000000DE4C: D1050005 20000D55
	v_mul_f32_e64 v6, -v86, s6                                 // 00000000DE54: D1050006 20000D56
	v_mul_f32_e64 v7, -v87, s6                                 // 00000000DE5C: D1050007 20000D57
	v_exp_f32_e32 v4, v4                                       // 00000000DE64: 7E084104
	v_exp_f32_e32 v5, v5                                       // 00000000DE68: 7E0A4105
	v_exp_f32_e32 v6, v6                                       // 00000000DE6C: 7E0C4106
	v_exp_f32_e32 v7, v7                                       // 00000000DE70: 7E0E4107
	v_add_f32_e64 v4, v4, 1.0                                  // 00000000DE74: D1010004 0001E504
	v_add_f32_e64 v5, v5, 1.0                                  // 00000000DE7C: D1010005 0001E505
	v_add_f32_e64 v6, v6, 1.0                                  // 00000000DE84: D1010006 0001E506
	v_add_f32_e64 v7, v7, 1.0                                  // 00000000DE8C: D1010007 0001E507
	v_rcp_f32_e32 v4, v4                                       // 00000000DE94: 7E084504
	v_rcp_f32_e32 v5, v5                                       // 00000000DE98: 7E0A4505
	v_rcp_f32_e32 v6, v6                                       // 00000000DE9C: 7E0C4506
	v_rcp_f32_e32 v7, v7                                       // 00000000DEA0: 7E0E4507
	v_mul_f32_e32 v84, v84, v4                                 // 00000000DEA4: 0AA80954
	v_mul_f32_e32 v85, v85, v5                                 // 00000000DEA8: 0AAA0B55
	v_mul_f32_e32 v86, v86, v6                                 // 00000000DEAC: 0AAC0D56
	v_mul_f32_e32 v87, v87, v7                                 // 00000000DEB0: 0AAE0F57
	v_mul_f32_e32 v84, v84, v132                               // 00000000DEB4: 0AA90954
	v_mul_f32_e32 v85, v85, v133                               // 00000000DEB8: 0AAB0B55
	v_mul_f32_e32 v86, v86, v134                               // 00000000DEBC: 0AAD0D56
	v_mul_f32_e32 v87, v87, v135                               // 00000000DEC0: 0AAF0F57
	v_mul_f32_e64 v4, -v88, s6                                 // 00000000DEC4: D1050004 20000D58
	v_mul_f32_e64 v5, -v89, s6                                 // 00000000DECC: D1050005 20000D59
	v_mul_f32_e64 v6, -v90, s6                                 // 00000000DED4: D1050006 20000D5A
	v_mul_f32_e64 v7, -v91, s6                                 // 00000000DEDC: D1050007 20000D5B
	v_exp_f32_e32 v4, v4                                       // 00000000DEE4: 7E084104
	v_exp_f32_e32 v5, v5                                       // 00000000DEE8: 7E0A4105
	v_exp_f32_e32 v6, v6                                       // 00000000DEEC: 7E0C4106
	v_exp_f32_e32 v7, v7                                       // 00000000DEF0: 7E0E4107
	v_add_f32_e64 v4, v4, 1.0                                  // 00000000DEF4: D1010004 0001E504
	v_add_f32_e64 v5, v5, 1.0                                  // 00000000DEFC: D1010005 0001E505
	v_add_f32_e64 v6, v6, 1.0                                  // 00000000DF04: D1010006 0001E506
	v_add_f32_e64 v7, v7, 1.0                                  // 00000000DF0C: D1010007 0001E507
	v_rcp_f32_e32 v4, v4                                       // 00000000DF14: 7E084504
	v_rcp_f32_e32 v5, v5                                       // 00000000DF18: 7E0A4505
	v_rcp_f32_e32 v6, v6                                       // 00000000DF1C: 7E0C4506
	v_rcp_f32_e32 v7, v7                                       // 00000000DF20: 7E0E4507
	v_mul_f32_e32 v88, v88, v4                                 // 00000000DF24: 0AB00958
	v_mul_f32_e32 v89, v89, v5                                 // 00000000DF28: 0AB20B59
	v_mul_f32_e32 v90, v90, v6                                 // 00000000DF2C: 0AB40D5A
	v_mul_f32_e32 v91, v91, v7                                 // 00000000DF30: 0AB60F5B
	v_mul_f32_e32 v88, v88, v136                               // 00000000DF34: 0AB11158
	v_mul_f32_e32 v89, v89, v137                               // 00000000DF38: 0AB31359
	v_mul_f32_e32 v90, v90, v138                               // 00000000DF3C: 0AB5155A
	v_mul_f32_e32 v91, v91, v139                               // 00000000DF40: 0AB7175B
	v_mul_f32_e64 v4, -v92, s6                                 // 00000000DF44: D1050004 20000D5C
	v_mul_f32_e64 v5, -v93, s6                                 // 00000000DF4C: D1050005 20000D5D
	v_mul_f32_e64 v6, -v94, s6                                 // 00000000DF54: D1050006 20000D5E
	v_mul_f32_e64 v7, -v95, s6                                 // 00000000DF5C: D1050007 20000D5F
	v_exp_f32_e32 v4, v4                                       // 00000000DF64: 7E084104
	v_exp_f32_e32 v5, v5                                       // 00000000DF68: 7E0A4105
	v_exp_f32_e32 v6, v6                                       // 00000000DF6C: 7E0C4106
	v_exp_f32_e32 v7, v7                                       // 00000000DF70: 7E0E4107
	v_add_f32_e64 v4, v4, 1.0                                  // 00000000DF74: D1010004 0001E504
	v_add_f32_e64 v5, v5, 1.0                                  // 00000000DF7C: D1010005 0001E505
	v_add_f32_e64 v6, v6, 1.0                                  // 00000000DF84: D1010006 0001E506
	v_add_f32_e64 v7, v7, 1.0                                  // 00000000DF8C: D1010007 0001E507
	v_rcp_f32_e32 v4, v4                                       // 00000000DF94: 7E084504
	v_rcp_f32_e32 v5, v5                                       // 00000000DF98: 7E0A4505
	v_rcp_f32_e32 v6, v6                                       // 00000000DF9C: 7E0C4506
	v_rcp_f32_e32 v7, v7                                       // 00000000DFA0: 7E0E4507
	v_mul_f32_e32 v92, v92, v4                                 // 00000000DFA4: 0AB8095C
	v_mul_f32_e32 v93, v93, v5                                 // 00000000DFA8: 0ABA0B5D
	v_mul_f32_e32 v94, v94, v6                                 // 00000000DFAC: 0ABC0D5E
	v_mul_f32_e32 v95, v95, v7                                 // 00000000DFB0: 0ABE0F5F
	v_mul_f32_e32 v92, v92, v140                               // 00000000DFB4: 0AB9195C
	v_mul_f32_e32 v93, v93, v141                               // 00000000DFB8: 0ABB1B5D
	v_mul_f32_e32 v94, v94, v142                               // 00000000DFBC: 0ABD1D5E
	v_mul_f32_e32 v95, v95, v143                               // 00000000DFC0: 0ABF1F5F
	v_mul_f32_e64 v4, -v96, s6                                 // 00000000DFC4: D1050004 20000D60
	v_mul_f32_e64 v5, -v97, s6                                 // 00000000DFCC: D1050005 20000D61
	v_mul_f32_e64 v6, -v98, s6                                 // 00000000DFD4: D1050006 20000D62
	v_mul_f32_e64 v7, -v99, s6                                 // 00000000DFDC: D1050007 20000D63
	v_exp_f32_e32 v4, v4                                       // 00000000DFE4: 7E084104
	v_exp_f32_e32 v5, v5                                       // 00000000DFE8: 7E0A4105
	v_exp_f32_e32 v6, v6                                       // 00000000DFEC: 7E0C4106
	v_exp_f32_e32 v7, v7                                       // 00000000DFF0: 7E0E4107
	v_add_f32_e64 v4, v4, 1.0                                  // 00000000DFF4: D1010004 0001E504
	v_add_f32_e64 v5, v5, 1.0                                  // 00000000DFFC: D1010005 0001E505
	v_add_f32_e64 v6, v6, 1.0                                  // 00000000E004: D1010006 0001E506
	v_add_f32_e64 v7, v7, 1.0                                  // 00000000E00C: D1010007 0001E507
	v_rcp_f32_e32 v4, v4                                       // 00000000E014: 7E084504
	v_rcp_f32_e32 v5, v5                                       // 00000000E018: 7E0A4505
	v_rcp_f32_e32 v6, v6                                       // 00000000E01C: 7E0C4506
	v_rcp_f32_e32 v7, v7                                       // 00000000E020: 7E0E4507
	v_mul_f32_e32 v96, v96, v4                                 // 00000000E024: 0AC00960
	v_mul_f32_e32 v97, v97, v5                                 // 00000000E028: 0AC20B61
	v_mul_f32_e32 v98, v98, v6                                 // 00000000E02C: 0AC40D62
	v_mul_f32_e32 v99, v99, v7                                 // 00000000E030: 0AC60F63
	v_mul_f32_e32 v96, v96, v144                               // 00000000E034: 0AC12160
	v_mul_f32_e32 v97, v97, v145                               // 00000000E038: 0AC32361
	v_mul_f32_e32 v98, v98, v146                               // 00000000E03C: 0AC52562
	v_mul_f32_e32 v99, v99, v147                               // 00000000E040: 0AC72763
	v_mul_f32_e64 v4, -v100, s6                                // 00000000E044: D1050004 20000D64
	v_mul_f32_e64 v5, -v101, s6                                // 00000000E04C: D1050005 20000D65
	v_mul_f32_e64 v6, -v102, s6                                // 00000000E054: D1050006 20000D66
	v_mul_f32_e64 v7, -v103, s6                                // 00000000E05C: D1050007 20000D67
	v_exp_f32_e32 v4, v4                                       // 00000000E064: 7E084104
	v_exp_f32_e32 v5, v5                                       // 00000000E068: 7E0A4105
	v_exp_f32_e32 v6, v6                                       // 00000000E06C: 7E0C4106
	v_exp_f32_e32 v7, v7                                       // 00000000E070: 7E0E4107
	v_add_f32_e64 v4, v4, 1.0                                  // 00000000E074: D1010004 0001E504
	v_add_f32_e64 v5, v5, 1.0                                  // 00000000E07C: D1010005 0001E505
	v_add_f32_e64 v6, v6, 1.0                                  // 00000000E084: D1010006 0001E506
	v_add_f32_e64 v7, v7, 1.0                                  // 00000000E08C: D1010007 0001E507
	v_rcp_f32_e32 v4, v4                                       // 00000000E094: 7E084504
	v_rcp_f32_e32 v5, v5                                       // 00000000E098: 7E0A4505
	v_rcp_f32_e32 v6, v6                                       // 00000000E09C: 7E0C4506
	v_rcp_f32_e32 v7, v7                                       // 00000000E0A0: 7E0E4507
	v_mul_f32_e32 v100, v100, v4                               // 00000000E0A4: 0AC80964
	v_mul_f32_e32 v101, v101, v5                               // 00000000E0A8: 0ACA0B65
	v_mul_f32_e32 v102, v102, v6                               // 00000000E0AC: 0ACC0D66
	v_mul_f32_e32 v103, v103, v7                               // 00000000E0B0: 0ACE0F67
	v_mul_f32_e32 v100, v100, v148                             // 00000000E0B4: 0AC92964
	v_mul_f32_e32 v101, v101, v149                             // 00000000E0B8: 0ACB2B65
	v_mul_f32_e32 v102, v102, v150                             // 00000000E0BC: 0ACD2D66
	v_mul_f32_e32 v103, v103, v151                             // 00000000E0C0: 0ACF2F67
	v_mul_f32_e64 v4, -v104, s6                                // 00000000E0C4: D1050004 20000D68
	v_mul_f32_e64 v5, -v105, s6                                // 00000000E0CC: D1050005 20000D69
	v_mul_f32_e64 v6, -v106, s6                                // 00000000E0D4: D1050006 20000D6A
	v_mul_f32_e64 v7, -v107, s6                                // 00000000E0DC: D1050007 20000D6B
	v_exp_f32_e32 v4, v4                                       // 00000000E0E4: 7E084104
	v_exp_f32_e32 v5, v5                                       // 00000000E0E8: 7E0A4105
	v_exp_f32_e32 v6, v6                                       // 00000000E0EC: 7E0C4106
	v_exp_f32_e32 v7, v7                                       // 00000000E0F0: 7E0E4107
	v_add_f32_e64 v4, v4, 1.0                                  // 00000000E0F4: D1010004 0001E504
	v_add_f32_e64 v5, v5, 1.0                                  // 00000000E0FC: D1010005 0001E505
	v_add_f32_e64 v6, v6, 1.0                                  // 00000000E104: D1010006 0001E506
	v_add_f32_e64 v7, v7, 1.0                                  // 00000000E10C: D1010007 0001E507
	v_rcp_f32_e32 v4, v4                                       // 00000000E114: 7E084504
	v_rcp_f32_e32 v5, v5                                       // 00000000E118: 7E0A4505
	v_rcp_f32_e32 v6, v6                                       // 00000000E11C: 7E0C4506
	v_rcp_f32_e32 v7, v7                                       // 00000000E120: 7E0E4507
	v_mul_f32_e32 v104, v104, v4                               // 00000000E124: 0AD00968
	v_mul_f32_e32 v105, v105, v5                               // 00000000E128: 0AD20B69
	v_mul_f32_e32 v106, v106, v6                               // 00000000E12C: 0AD40D6A
	v_mul_f32_e32 v107, v107, v7                               // 00000000E130: 0AD60F6B
	v_mul_f32_e32 v104, v104, v152                             // 00000000E134: 0AD13168
	v_mul_f32_e32 v105, v105, v153                             // 00000000E138: 0AD33369
	v_mul_f32_e32 v106, v106, v154                             // 00000000E13C: 0AD5356A
	v_mul_f32_e32 v107, v107, v155                             // 00000000E140: 0AD7376B
	v_mul_f32_e64 v4, -v108, s6                                // 00000000E144: D1050004 20000D6C
	v_mul_f32_e64 v5, -v109, s6                                // 00000000E14C: D1050005 20000D6D
	v_mul_f32_e64 v6, -v110, s6                                // 00000000E154: D1050006 20000D6E
	v_mul_f32_e64 v7, -v111, s6                                // 00000000E15C: D1050007 20000D6F
	v_exp_f32_e32 v4, v4                                       // 00000000E164: 7E084104
	v_exp_f32_e32 v5, v5                                       // 00000000E168: 7E0A4105
	v_exp_f32_e32 v6, v6                                       // 00000000E16C: 7E0C4106
	v_exp_f32_e32 v7, v7                                       // 00000000E170: 7E0E4107
	v_add_f32_e64 v4, v4, 1.0                                  // 00000000E174: D1010004 0001E504
	v_add_f32_e64 v5, v5, 1.0                                  // 00000000E17C: D1010005 0001E505
	v_add_f32_e64 v6, v6, 1.0                                  // 00000000E184: D1010006 0001E506
	v_add_f32_e64 v7, v7, 1.0                                  // 00000000E18C: D1010007 0001E507
	v_rcp_f32_e32 v4, v4                                       // 00000000E194: 7E084504
	v_rcp_f32_e32 v5, v5                                       // 00000000E198: 7E0A4505
	v_rcp_f32_e32 v6, v6                                       // 00000000E19C: 7E0C4506
	v_rcp_f32_e32 v7, v7                                       // 00000000E1A0: 7E0E4507
	v_mul_f32_e32 v108, v108, v4                               // 00000000E1A4: 0AD8096C
	v_mul_f32_e32 v109, v109, v5                               // 00000000E1A8: 0ADA0B6D
	v_mul_f32_e32 v110, v110, v6                               // 00000000E1AC: 0ADC0D6E
	v_mul_f32_e32 v111, v111, v7                               // 00000000E1B0: 0ADE0F6F
	v_mul_f32_e32 v108, v108, v156                             // 00000000E1B4: 0AD9396C
	v_mul_f32_e32 v109, v109, v157                             // 00000000E1B8: 0ADB3B6D
	v_mul_f32_e32 v110, v110, v158                             // 00000000E1BC: 0ADD3D6E
	v_mul_f32_e32 v111, v111, v159                             // 00000000E1C0: 0ADF3F6F
	v_mul_f32_e64 v4, -v112, s6                                // 00000000E1C4: D1050004 20000D70
	v_mul_f32_e64 v5, -v113, s6                                // 00000000E1CC: D1050005 20000D71
	v_mul_f32_e64 v6, -v114, s6                                // 00000000E1D4: D1050006 20000D72
	v_mul_f32_e64 v7, -v115, s6                                // 00000000E1DC: D1050007 20000D73
	v_exp_f32_e32 v4, v4                                       // 00000000E1E4: 7E084104
	v_exp_f32_e32 v5, v5                                       // 00000000E1E8: 7E0A4105
	v_exp_f32_e32 v6, v6                                       // 00000000E1EC: 7E0C4106
	v_exp_f32_e32 v7, v7                                       // 00000000E1F0: 7E0E4107
	v_add_f32_e64 v4, v4, 1.0                                  // 00000000E1F4: D1010004 0001E504
	v_add_f32_e64 v5, v5, 1.0                                  // 00000000E1FC: D1010005 0001E505
	v_add_f32_e64 v6, v6, 1.0                                  // 00000000E204: D1010006 0001E506
	v_add_f32_e64 v7, v7, 1.0                                  // 00000000E20C: D1010007 0001E507
	v_rcp_f32_e32 v4, v4                                       // 00000000E214: 7E084504
	v_rcp_f32_e32 v5, v5                                       // 00000000E218: 7E0A4505
	v_rcp_f32_e32 v6, v6                                       // 00000000E21C: 7E0C4506
	v_rcp_f32_e32 v7, v7                                       // 00000000E220: 7E0E4507
	v_mul_f32_e32 v112, v112, v4                               // 00000000E224: 0AE00970
	v_mul_f32_e32 v113, v113, v5                               // 00000000E228: 0AE20B71
	v_mul_f32_e32 v114, v114, v6                               // 00000000E22C: 0AE40D72
	v_mul_f32_e32 v115, v115, v7                               // 00000000E230: 0AE60F73
	v_mul_f32_e32 v112, v112, v160                             // 00000000E234: 0AE14170
	v_mul_f32_e32 v113, v113, v161                             // 00000000E238: 0AE34371
	v_mul_f32_e32 v114, v114, v162                             // 00000000E23C: 0AE54572
	v_mul_f32_e32 v115, v115, v163                             // 00000000E240: 0AE74773

000000000000e244 <label_2E14>:
	s_cmp_eq_u32 s7, 0                                         // 00000000E244: BF068007
	s_cbranch_scc0 label_2E2A                                  // 00000000E248: BF840014
	v_and_b32_e32 v4, 15, v0                                   // 00000000E24C: 2608008F
	v_lshlrev_b32_e32 v4, 2, v4                                // 00000000E250: 24080882
	buffer_load_dword v30, v4, s[12:15], 0 offen               // 00000000E254: E0501000 80031E04
	v_add_u32_e32 v4, 64, v4                                   // 00000000E25C: 680808C0
	buffer_load_dword v31, v4, s[12:15], 0 offen               // 00000000E260: E0501000 80031F04
	v_add_u32_e32 v4, 64, v4                                   // 00000000E268: 680808C0
	buffer_load_dword v32, v4, s[12:15], 0 offen               // 00000000E26C: E0501000 80032004
	v_add_u32_e32 v4, 64, v4                                   // 00000000E274: 680808C0
	buffer_load_dword v33, v4, s[12:15], 0 offen               // 00000000E278: E0501000 80032104
	v_add_u32_e32 v4, 64, v4                                   // 00000000E280: 680808C0
	buffer_load_dword v34, v4, s[12:15], 0 offen               // 00000000E284: E0501000 80032204
	v_add_u32_e32 v4, 64, v4                                   // 00000000E28C: 680808C0
	buffer_load_dword v35, v4, s[12:15], 0 offen               // 00000000E290: E0501000 80032304
	v_add_u32_e32 v4, 64, v4                                   // 00000000E298: 680808C0

000000000000e29c <label_2E2A>:
	v_lshlrev_b32_e32 v4, 2, v0                                // 00000000E29C: 24080082
	s_mul_i32 s60, 0x100, s7                                   // 00000000E2A0: 923C07FF 00000100
	v_add_u32_e32 v122, s60, v4                                // 00000000E2A8: 68F4083C
	v_and_b32_e32 v4, 15, v0                                   // 00000000E2AC: 2608008F
	v_lshlrev_b32_e32 v123, 2, v4                              // 00000000E2B0: 24F60882
	s_waitcnt lgkmcnt(0)                                       // 00000000E2B4: BF8CC07F
	s_barrier                                                  // 00000000E2B8: BF8A0000
	v_mov_b32_e32 v116, 0x358637bd                             // 00000000E2BC: 7EE802FF 358637BD
	v_max3_f32 v116, |v68|, |v69|, v116                        // 00000000E2C4: D1D30374 05D28B44
	v_max3_f32 v116, |v70|, |v71|, v116                        // 00000000E2CC: D1D30374 05D28F46
	v_max3_f32 v116, |v92|, |v93|, v116                        // 00000000E2D4: D1D30374 05D2BB5C
	v_max3_f32 v116, |v94|, |v95|, v116                        // 00000000E2DC: D1D30374 05D2BF5E
	ds_write_b32 v122, v116                                    // 00000000E2E4: D81A0000 0000747A
	s_waitcnt lgkmcnt(0)                                       // 00000000E2EC: BF8CC07F
	s_barrier                                                  // 00000000E2F0: BF8A0000
	ds_read_b32 v4, v123                                       // 00000000E2F4: D86C0000 0400007B
	ds_read_b32 v5, v123 offset:64                             // 00000000E2FC: D86C0040 0500007B
	ds_read_b32 v6, v123 offset:128                            // 00000000E304: D86C0080 0600007B
	ds_read_b32 v7, v123 offset:192                            // 00000000E30C: D86C00C0 0700007B
	ds_read_b32 v8, v123 offset:256                            // 00000000E314: D86C0100 0800007B
	ds_read_b32 v9, v123 offset:320                            // 00000000E31C: D86C0140 0900007B
	ds_read_b32 v10, v123 offset:384                           // 00000000E324: D86C0180 0A00007B
	ds_read_b32 v11, v123 offset:448                           // 00000000E32C: D86C01C0 0B00007B
	ds_read_b32 v12, v123 offset:512                           // 00000000E334: D86C0200 0C00007B
	ds_read_b32 v13, v123 offset:576                           // 00000000E33C: D86C0240 0D00007B
	ds_read_b32 v14, v123 offset:640                           // 00000000E344: D86C0280 0E00007B
	ds_read_b32 v15, v123 offset:704                           // 00000000E34C: D86C02C0 0F00007B
	ds_read_b32 v16, v123 offset:768                           // 00000000E354: D86C0300 1000007B
	ds_read_b32 v17, v123 offset:832                           // 00000000E35C: D86C0340 1100007B
	ds_read_b32 v18, v123 offset:896                           // 00000000E364: D86C0380 1200007B
	ds_read_b32 v19, v123 offset:960                           // 00000000E36C: D86C03C0 1300007B
	s_waitcnt lgkmcnt(0)                                       // 00000000E374: BF8CC07F
	s_barrier                                                  // 00000000E378: BF8A0000
	v_max3_f32 v116, |v4|, |v5|, v116                          // 00000000E37C: D1D30374 05D20B04
	v_max3_f32 v116, |v6|, |v7|, v116                          // 00000000E384: D1D30374 05D20F06
	v_max3_f32 v116, |v8|, |v9|, v116                          // 00000000E38C: D1D30374 05D21308
	v_max3_f32 v116, |v10|, |v11|, v116                        // 00000000E394: D1D30374 05D2170A
	v_max3_f32 v116, |v12|, |v13|, v116                        // 00000000E39C: D1D30374 05D21B0C
	v_max3_f32 v116, |v14|, |v15|, v116                        // 00000000E3A4: D1D30374 05D21F0E
	v_max3_f32 v116, |v16|, |v17|, v116                        // 00000000E3AC: D1D30374 05D22310
	v_max3_f32 v116, |v18|, |v19|, v116                        // 00000000E3B4: D1D30374 05D22712
	v_rcp_f32_e32 v116, v116                                   // 00000000E3BC: 7EE84574
	v_mov_b32_e32 v4, 0x43700000                               // 00000000E3C0: 7E0802FF 43700000
	v_mul_f32_e32 v116, v4, v116                               // 00000000E3C8: 0AE8E904
	v_mov_b32_e32 v4, v116                                     // 00000000E3CC: 7E080374
	v_mov_b32_e32 v5, v4                                       // 00000000E3D0: 7E0A0304
	v_pk_mul_f32 v[68:69], v[4:5], v[68:69]                    // 00000000E3D4: D3B14044 18028904
	v_pk_mul_f32 v[70:71], v[4:5], v[70:71]                    // 00000000E3DC: D3B14046 18028D04
	v_cvt_pk_fp8_f32 v68, v68, v69                             // 00000000E3E4: D2A20044 00028B44
	v_cvt_pk_fp8_f32 v68, v70, v71 op_sel:[0,0,1]              // 00000000E3EC: D2A24044 00028F46
	v_pk_mul_f32 v[92:93], v[4:5], v[92:93]                    // 00000000E3F4: D3B1405C 1802B904
	v_pk_mul_f32 v[94:95], v[4:5], v[94:95]                    // 00000000E3FC: D3B1405E 1802BD04
	v_cvt_pk_fp8_f32 v92, v92, v93                             // 00000000E404: D2A2005C 0002BB5C
	v_cvt_pk_fp8_f32 v92, v94, v95 op_sel:[0,0,1]              // 00000000E40C: D2A2405C 0002BF5E
	v_rcp_f32_e32 v116, v116                                   // 00000000E414: 7EE84574
	v_mov_b32_e32 v117, 0x358637bd                             // 00000000E418: 7EEA02FF 358637BD
	v_max3_f32 v117, |v72|, |v73|, v117                        // 00000000E420: D1D30375 05D69348
	v_max3_f32 v117, |v74|, |v75|, v117                        // 00000000E428: D1D30375 05D6974A
	v_max3_f32 v117, |v96|, |v97|, v117                        // 00000000E430: D1D30375 05D6C360
	v_max3_f32 v117, |v98|, |v99|, v117                        // 00000000E438: D1D30375 05D6C762
	ds_write_b32 v122, v117                                    // 00000000E440: D81A0000 0000757A
	s_waitcnt lgkmcnt(0)                                       // 00000000E448: BF8CC07F
	s_barrier                                                  // 00000000E44C: BF8A0000
	ds_read_b32 v4, v123                                       // 00000000E450: D86C0000 0400007B
	ds_read_b32 v5, v123 offset:64                             // 00000000E458: D86C0040 0500007B
	ds_read_b32 v6, v123 offset:128                            // 00000000E460: D86C0080 0600007B
	ds_read_b32 v7, v123 offset:192                            // 00000000E468: D86C00C0 0700007B
	ds_read_b32 v8, v123 offset:256                            // 00000000E470: D86C0100 0800007B
	ds_read_b32 v9, v123 offset:320                            // 00000000E478: D86C0140 0900007B
	ds_read_b32 v10, v123 offset:384                           // 00000000E480: D86C0180 0A00007B
	ds_read_b32 v11, v123 offset:448                           // 00000000E488: D86C01C0 0B00007B
	ds_read_b32 v12, v123 offset:512                           // 00000000E490: D86C0200 0C00007B
	ds_read_b32 v13, v123 offset:576                           // 00000000E498: D86C0240 0D00007B
	ds_read_b32 v14, v123 offset:640                           // 00000000E4A0: D86C0280 0E00007B
	ds_read_b32 v15, v123 offset:704                           // 00000000E4A8: D86C02C0 0F00007B
	ds_read_b32 v16, v123 offset:768                           // 00000000E4B0: D86C0300 1000007B
	ds_read_b32 v17, v123 offset:832                           // 00000000E4B8: D86C0340 1100007B
	ds_read_b32 v18, v123 offset:896                           // 00000000E4C0: D86C0380 1200007B
	ds_read_b32 v19, v123 offset:960                           // 00000000E4C8: D86C03C0 1300007B
	s_waitcnt lgkmcnt(0)                                       // 00000000E4D0: BF8CC07F
	s_barrier                                                  // 00000000E4D4: BF8A0000
	v_max3_f32 v117, |v4|, |v5|, v117                          // 00000000E4D8: D1D30375 05D60B04
	v_max3_f32 v117, |v6|, |v7|, v117                          // 00000000E4E0: D1D30375 05D60F06
	v_max3_f32 v117, |v8|, |v9|, v117                          // 00000000E4E8: D1D30375 05D61308
	v_max3_f32 v117, |v10|, |v11|, v117                        // 00000000E4F0: D1D30375 05D6170A
	v_max3_f32 v117, |v12|, |v13|, v117                        // 00000000E4F8: D1D30375 05D61B0C
	v_max3_f32 v117, |v14|, |v15|, v117                        // 00000000E500: D1D30375 05D61F0E
	v_max3_f32 v117, |v16|, |v17|, v117                        // 00000000E508: D1D30375 05D62310
	v_max3_f32 v117, |v18|, |v19|, v117                        // 00000000E510: D1D30375 05D62712
	v_rcp_f32_e32 v117, v117                                   // 00000000E518: 7EEA4575
	v_mov_b32_e32 v4, 0x43700000                               // 00000000E51C: 7E0802FF 43700000
	v_mul_f32_e32 v117, v4, v117                               // 00000000E524: 0AEAEB04
	v_mov_b32_e32 v4, v117                                     // 00000000E528: 7E080375
	v_mov_b32_e32 v5, v4                                       // 00000000E52C: 7E0A0304
	v_pk_mul_f32 v[72:73], v[4:5], v[72:73]                    // 00000000E530: D3B14048 18029104
	v_pk_mul_f32 v[74:75], v[4:5], v[74:75]                    // 00000000E538: D3B1404A 18029504
	v_cvt_pk_fp8_f32 v72, v72, v73                             // 00000000E540: D2A20048 00029348
	v_cvt_pk_fp8_f32 v72, v74, v75 op_sel:[0,0,1]              // 00000000E548: D2A24048 0002974A
	v_pk_mul_f32 v[96:97], v[4:5], v[96:97]                    // 00000000E550: D3B14060 1802C104
	v_pk_mul_f32 v[98:99], v[4:5], v[98:99]                    // 00000000E558: D3B14062 1802C504
	v_cvt_pk_fp8_f32 v96, v96, v97                             // 00000000E560: D2A20060 0002C360
	v_cvt_pk_fp8_f32 v96, v98, v99 op_sel:[0,0,1]              // 00000000E568: D2A24060 0002C762
	v_rcp_f32_e32 v117, v117                                   // 00000000E570: 7EEA4575
	v_mov_b32_e32 v118, 0x358637bd                             // 00000000E574: 7EEC02FF 358637BD
	v_max3_f32 v118, |v76|, |v77|, v118                        // 00000000E57C: D1D30376 05DA9B4C
	v_max3_f32 v118, |v78|, |v79|, v118                        // 00000000E584: D1D30376 05DA9F4E
	v_max3_f32 v118, |v100|, |v101|, v118                      // 00000000E58C: D1D30376 05DACB64
	v_max3_f32 v118, |v102|, |v103|, v118                      // 00000000E594: D1D30376 05DACF66
	ds_write_b32 v122, v118                                    // 00000000E59C: D81A0000 0000767A
	s_waitcnt lgkmcnt(0)                                       // 00000000E5A4: BF8CC07F
	s_barrier                                                  // 00000000E5A8: BF8A0000
	ds_read_b32 v4, v123                                       // 00000000E5AC: D86C0000 0400007B
	ds_read_b32 v5, v123 offset:64                             // 00000000E5B4: D86C0040 0500007B
	ds_read_b32 v6, v123 offset:128                            // 00000000E5BC: D86C0080 0600007B
	ds_read_b32 v7, v123 offset:192                            // 00000000E5C4: D86C00C0 0700007B
	ds_read_b32 v8, v123 offset:256                            // 00000000E5CC: D86C0100 0800007B
	ds_read_b32 v9, v123 offset:320                            // 00000000E5D4: D86C0140 0900007B
	ds_read_b32 v10, v123 offset:384                           // 00000000E5DC: D86C0180 0A00007B
	ds_read_b32 v11, v123 offset:448                           // 00000000E5E4: D86C01C0 0B00007B
	ds_read_b32 v12, v123 offset:512                           // 00000000E5EC: D86C0200 0C00007B
	ds_read_b32 v13, v123 offset:576                           // 00000000E5F4: D86C0240 0D00007B
	ds_read_b32 v14, v123 offset:640                           // 00000000E5FC: D86C0280 0E00007B
	ds_read_b32 v15, v123 offset:704                           // 00000000E604: D86C02C0 0F00007B
	ds_read_b32 v16, v123 offset:768                           // 00000000E60C: D86C0300 1000007B
	ds_read_b32 v17, v123 offset:832                           // 00000000E614: D86C0340 1100007B
	ds_read_b32 v18, v123 offset:896                           // 00000000E61C: D86C0380 1200007B
	ds_read_b32 v19, v123 offset:960                           // 00000000E624: D86C03C0 1300007B
	s_waitcnt lgkmcnt(0)                                       // 00000000E62C: BF8CC07F
	s_barrier                                                  // 00000000E630: BF8A0000
	v_max3_f32 v118, |v4|, |v5|, v118                          // 00000000E634: D1D30376 05DA0B04
	v_max3_f32 v118, |v6|, |v7|, v118                          // 00000000E63C: D1D30376 05DA0F06
	v_max3_f32 v118, |v8|, |v9|, v118                          // 00000000E644: D1D30376 05DA1308
	v_max3_f32 v118, |v10|, |v11|, v118                        // 00000000E64C: D1D30376 05DA170A
	v_max3_f32 v118, |v12|, |v13|, v118                        // 00000000E654: D1D30376 05DA1B0C
	v_max3_f32 v118, |v14|, |v15|, v118                        // 00000000E65C: D1D30376 05DA1F0E
	v_max3_f32 v118, |v16|, |v17|, v118                        // 00000000E664: D1D30376 05DA2310
	v_max3_f32 v118, |v18|, |v19|, v118                        // 00000000E66C: D1D30376 05DA2712
	v_rcp_f32_e32 v118, v118                                   // 00000000E674: 7EEC4576
	v_mov_b32_e32 v4, 0x43700000                               // 00000000E678: 7E0802FF 43700000
	v_mul_f32_e32 v118, v4, v118                               // 00000000E680: 0AECED04
	v_mov_b32_e32 v4, v118                                     // 00000000E684: 7E080376
	v_mov_b32_e32 v5, v4                                       // 00000000E688: 7E0A0304
	v_pk_mul_f32 v[76:77], v[4:5], v[76:77]                    // 00000000E68C: D3B1404C 18029904
	v_pk_mul_f32 v[78:79], v[4:5], v[78:79]                    // 00000000E694: D3B1404E 18029D04
	v_cvt_pk_fp8_f32 v76, v76, v77                             // 00000000E69C: D2A2004C 00029B4C
	v_cvt_pk_fp8_f32 v76, v78, v79 op_sel:[0,0,1]              // 00000000E6A4: D2A2404C 00029F4E
	v_pk_mul_f32 v[100:101], v[4:5], v[100:101]                // 00000000E6AC: D3B14064 1802C904
	v_pk_mul_f32 v[102:103], v[4:5], v[102:103]                // 00000000E6B4: D3B14066 1802CD04
	v_cvt_pk_fp8_f32 v100, v100, v101                          // 00000000E6BC: D2A20064 0002CB64
	v_cvt_pk_fp8_f32 v100, v102, v103 op_sel:[0,0,1]           // 00000000E6C4: D2A24064 0002CF66
	v_rcp_f32_e32 v118, v118                                   // 00000000E6CC: 7EEC4576
	v_mov_b32_e32 v119, 0x358637bd                             // 00000000E6D0: 7EEE02FF 358637BD
	v_max3_f32 v119, |v80|, |v81|, v119                        // 00000000E6D8: D1D30377 05DEA350
	v_max3_f32 v119, |v82|, |v83|, v119                        // 00000000E6E0: D1D30377 05DEA752
	v_max3_f32 v119, |v104|, |v105|, v119                      // 00000000E6E8: D1D30377 05DED368
	v_max3_f32 v119, |v106|, |v107|, v119                      // 00000000E6F0: D1D30377 05DED76A
	ds_write_b32 v122, v119                                    // 00000000E6F8: D81A0000 0000777A
	s_waitcnt lgkmcnt(0)                                       // 00000000E700: BF8CC07F
	s_barrier                                                  // 00000000E704: BF8A0000
	ds_read_b32 v4, v123                                       // 00000000E708: D86C0000 0400007B
	ds_read_b32 v5, v123 offset:64                             // 00000000E710: D86C0040 0500007B
	ds_read_b32 v6, v123 offset:128                            // 00000000E718: D86C0080 0600007B
	ds_read_b32 v7, v123 offset:192                            // 00000000E720: D86C00C0 0700007B
	ds_read_b32 v8, v123 offset:256                            // 00000000E728: D86C0100 0800007B
	ds_read_b32 v9, v123 offset:320                            // 00000000E730: D86C0140 0900007B
	ds_read_b32 v10, v123 offset:384                           // 00000000E738: D86C0180 0A00007B
	ds_read_b32 v11, v123 offset:448                           // 00000000E740: D86C01C0 0B00007B
	ds_read_b32 v12, v123 offset:512                           // 00000000E748: D86C0200 0C00007B
	ds_read_b32 v13, v123 offset:576                           // 00000000E750: D86C0240 0D00007B
	ds_read_b32 v14, v123 offset:640                           // 00000000E758: D86C0280 0E00007B
	ds_read_b32 v15, v123 offset:704                           // 00000000E760: D86C02C0 0F00007B
	ds_read_b32 v16, v123 offset:768                           // 00000000E768: D86C0300 1000007B
	ds_read_b32 v17, v123 offset:832                           // 00000000E770: D86C0340 1100007B
	ds_read_b32 v18, v123 offset:896                           // 00000000E778: D86C0380 1200007B
	ds_read_b32 v19, v123 offset:960                           // 00000000E780: D86C03C0 1300007B
	s_waitcnt lgkmcnt(0)                                       // 00000000E788: BF8CC07F
	s_barrier                                                  // 00000000E78C: BF8A0000
	v_max3_f32 v119, |v4|, |v5|, v119                          // 00000000E790: D1D30377 05DE0B04
	v_max3_f32 v119, |v6|, |v7|, v119                          // 00000000E798: D1D30377 05DE0F06
	v_max3_f32 v119, |v8|, |v9|, v119                          // 00000000E7A0: D1D30377 05DE1308
	v_max3_f32 v119, |v10|, |v11|, v119                        // 00000000E7A8: D1D30377 05DE170A
	v_max3_f32 v119, |v12|, |v13|, v119                        // 00000000E7B0: D1D30377 05DE1B0C
	v_max3_f32 v119, |v14|, |v15|, v119                        // 00000000E7B8: D1D30377 05DE1F0E
	v_max3_f32 v119, |v16|, |v17|, v119                        // 00000000E7C0: D1D30377 05DE2310
	v_max3_f32 v119, |v18|, |v19|, v119                        // 00000000E7C8: D1D30377 05DE2712
	v_rcp_f32_e32 v119, v119                                   // 00000000E7D0: 7EEE4577
	v_mov_b32_e32 v4, 0x43700000                               // 00000000E7D4: 7E0802FF 43700000
	v_mul_f32_e32 v119, v4, v119                               // 00000000E7DC: 0AEEEF04
	v_mov_b32_e32 v4, v119                                     // 00000000E7E0: 7E080377
	v_mov_b32_e32 v5, v4                                       // 00000000E7E4: 7E0A0304
	v_pk_mul_f32 v[80:81], v[4:5], v[80:81]                    // 00000000E7E8: D3B14050 1802A104
	v_pk_mul_f32 v[82:83], v[4:5], v[82:83]                    // 00000000E7F0: D3B14052 1802A504
	v_cvt_pk_fp8_f32 v80, v80, v81                             // 00000000E7F8: D2A20050 0002A350
	v_cvt_pk_fp8_f32 v80, v82, v83 op_sel:[0,0,1]              // 00000000E800: D2A24050 0002A752
	v_pk_mul_f32 v[104:105], v[4:5], v[104:105]                // 00000000E808: D3B14068 1802D104
	v_pk_mul_f32 v[106:107], v[4:5], v[106:107]                // 00000000E810: D3B1406A 1802D504
	v_cvt_pk_fp8_f32 v104, v104, v105                          // 00000000E818: D2A20068 0002D368
	v_cvt_pk_fp8_f32 v104, v106, v107 op_sel:[0,0,1]           // 00000000E820: D2A24068 0002D76A
	v_rcp_f32_e32 v119, v119                                   // 00000000E828: 7EEE4577
	v_mov_b32_e32 v120, 0x358637bd                             // 00000000E82C: 7EF002FF 358637BD
	v_max3_f32 v120, |v84|, |v85|, v120                        // 00000000E834: D1D30378 05E2AB54
	v_max3_f32 v120, |v86|, |v87|, v120                        // 00000000E83C: D1D30378 05E2AF56
	v_max3_f32 v120, |v108|, |v109|, v120                      // 00000000E844: D1D30378 05E2DB6C
	v_max3_f32 v120, |v110|, |v111|, v120                      // 00000000E84C: D1D30378 05E2DF6E
	ds_write_b32 v122, v120                                    // 00000000E854: D81A0000 0000787A
	s_waitcnt lgkmcnt(0)                                       // 00000000E85C: BF8CC07F
	s_barrier                                                  // 00000000E860: BF8A0000
	ds_read_b32 v4, v123                                       // 00000000E864: D86C0000 0400007B
	ds_read_b32 v5, v123 offset:64                             // 00000000E86C: D86C0040 0500007B
	ds_read_b32 v6, v123 offset:128                            // 00000000E874: D86C0080 0600007B
	ds_read_b32 v7, v123 offset:192                            // 00000000E87C: D86C00C0 0700007B
	ds_read_b32 v8, v123 offset:256                            // 00000000E884: D86C0100 0800007B
	ds_read_b32 v9, v123 offset:320                            // 00000000E88C: D86C0140 0900007B
	ds_read_b32 v10, v123 offset:384                           // 00000000E894: D86C0180 0A00007B
	ds_read_b32 v11, v123 offset:448                           // 00000000E89C: D86C01C0 0B00007B
	ds_read_b32 v12, v123 offset:512                           // 00000000E8A4: D86C0200 0C00007B
	ds_read_b32 v13, v123 offset:576                           // 00000000E8AC: D86C0240 0D00007B
	ds_read_b32 v14, v123 offset:640                           // 00000000E8B4: D86C0280 0E00007B
	ds_read_b32 v15, v123 offset:704                           // 00000000E8BC: D86C02C0 0F00007B
	ds_read_b32 v16, v123 offset:768                           // 00000000E8C4: D86C0300 1000007B
	ds_read_b32 v17, v123 offset:832                           // 00000000E8CC: D86C0340 1100007B
	ds_read_b32 v18, v123 offset:896                           // 00000000E8D4: D86C0380 1200007B
	ds_read_b32 v19, v123 offset:960                           // 00000000E8DC: D86C03C0 1300007B
	s_waitcnt lgkmcnt(0)                                       // 00000000E8E4: BF8CC07F
	s_barrier                                                  // 00000000E8E8: BF8A0000
	v_max3_f32 v120, |v4|, |v5|, v120                          // 00000000E8EC: D1D30378 05E20B04
	v_max3_f32 v120, |v6|, |v7|, v120                          // 00000000E8F4: D1D30378 05E20F06
	v_max3_f32 v120, |v8|, |v9|, v120                          // 00000000E8FC: D1D30378 05E21308
	v_max3_f32 v120, |v10|, |v11|, v120                        // 00000000E904: D1D30378 05E2170A
	v_max3_f32 v120, |v12|, |v13|, v120                        // 00000000E90C: D1D30378 05E21B0C
	v_max3_f32 v120, |v14|, |v15|, v120                        // 00000000E914: D1D30378 05E21F0E
	v_max3_f32 v120, |v16|, |v17|, v120                        // 00000000E91C: D1D30378 05E22310
	v_max3_f32 v120, |v18|, |v19|, v120                        // 00000000E924: D1D30378 05E22712
	v_rcp_f32_e32 v120, v120                                   // 00000000E92C: 7EF04578
	v_mov_b32_e32 v4, 0x43700000                               // 00000000E930: 7E0802FF 43700000
	v_mul_f32_e32 v120, v4, v120                               // 00000000E938: 0AF0F104
	v_mov_b32_e32 v4, v120                                     // 00000000E93C: 7E080378
	v_mov_b32_e32 v5, v4                                       // 00000000E940: 7E0A0304
	v_pk_mul_f32 v[84:85], v[4:5], v[84:85]                    // 00000000E944: D3B14054 1802A904
	v_pk_mul_f32 v[86:87], v[4:5], v[86:87]                    // 00000000E94C: D3B14056 1802AD04
	v_cvt_pk_fp8_f32 v84, v84, v85                             // 00000000E954: D2A20054 0002AB54
	v_cvt_pk_fp8_f32 v84, v86, v87 op_sel:[0,0,1]              // 00000000E95C: D2A24054 0002AF56
	v_pk_mul_f32 v[108:109], v[4:5], v[108:109]                // 00000000E964: D3B1406C 1802D904
	v_pk_mul_f32 v[110:111], v[4:5], v[110:111]                // 00000000E96C: D3B1406E 1802DD04
	v_cvt_pk_fp8_f32 v108, v108, v109                          // 00000000E974: D2A2006C 0002DB6C
	v_cvt_pk_fp8_f32 v108, v110, v111 op_sel:[0,0,1]           // 00000000E97C: D2A2406C 0002DF6E
	v_rcp_f32_e32 v120, v120                                   // 00000000E984: 7EF04578
	v_mov_b32_e32 v121, 0x358637bd                             // 00000000E988: 7EF202FF 358637BD
	v_max3_f32 v121, |v88|, |v89|, v121                        // 00000000E990: D1D30379 05E6B358
	v_max3_f32 v121, |v90|, |v91|, v121                        // 00000000E998: D1D30379 05E6B75A
	v_max3_f32 v121, |v112|, |v113|, v121                      // 00000000E9A0: D1D30379 05E6E370
	v_max3_f32 v121, |v114|, |v115|, v121                      // 00000000E9A8: D1D30379 05E6E772
	ds_write_b32 v122, v121                                    // 00000000E9B0: D81A0000 0000797A
	s_waitcnt lgkmcnt(0)                                       // 00000000E9B8: BF8CC07F
	s_barrier                                                  // 00000000E9BC: BF8A0000
	ds_read_b32 v4, v123                                       // 00000000E9C0: D86C0000 0400007B
	ds_read_b32 v5, v123 offset:64                             // 00000000E9C8: D86C0040 0500007B
	ds_read_b32 v6, v123 offset:128                            // 00000000E9D0: D86C0080 0600007B
	ds_read_b32 v7, v123 offset:192                            // 00000000E9D8: D86C00C0 0700007B
	ds_read_b32 v8, v123 offset:256                            // 00000000E9E0: D86C0100 0800007B
	ds_read_b32 v9, v123 offset:320                            // 00000000E9E8: D86C0140 0900007B
	ds_read_b32 v10, v123 offset:384                           // 00000000E9F0: D86C0180 0A00007B
	ds_read_b32 v11, v123 offset:448                           // 00000000E9F8: D86C01C0 0B00007B
	ds_read_b32 v12, v123 offset:512                           // 00000000EA00: D86C0200 0C00007B
	ds_read_b32 v13, v123 offset:576                           // 00000000EA08: D86C0240 0D00007B
	ds_read_b32 v14, v123 offset:640                           // 00000000EA10: D86C0280 0E00007B
	ds_read_b32 v15, v123 offset:704                           // 00000000EA18: D86C02C0 0F00007B
	ds_read_b32 v16, v123 offset:768                           // 00000000EA20: D86C0300 1000007B
	ds_read_b32 v17, v123 offset:832                           // 00000000EA28: D86C0340 1100007B
	ds_read_b32 v18, v123 offset:896                           // 00000000EA30: D86C0380 1200007B
	ds_read_b32 v19, v123 offset:960                           // 00000000EA38: D86C03C0 1300007B
	s_waitcnt lgkmcnt(0)                                       // 00000000EA40: BF8CC07F
	s_barrier                                                  // 00000000EA44: BF8A0000
	v_max3_f32 v121, |v4|, |v5|, v121                          // 00000000EA48: D1D30379 05E60B04
	v_max3_f32 v121, |v6|, |v7|, v121                          // 00000000EA50: D1D30379 05E60F06
	v_max3_f32 v121, |v8|, |v9|, v121                          // 00000000EA58: D1D30379 05E61308
	v_max3_f32 v121, |v10|, |v11|, v121                        // 00000000EA60: D1D30379 05E6170A
	v_max3_f32 v121, |v12|, |v13|, v121                        // 00000000EA68: D1D30379 05E61B0C
	v_max3_f32 v121, |v14|, |v15|, v121                        // 00000000EA70: D1D30379 05E61F0E
	v_max3_f32 v121, |v16|, |v17|, v121                        // 00000000EA78: D1D30379 05E62310
	v_max3_f32 v121, |v18|, |v19|, v121                        // 00000000EA80: D1D30379 05E62712
	v_rcp_f32_e32 v121, v121                                   // 00000000EA88: 7EF24579
	v_mov_b32_e32 v4, 0x43700000                               // 00000000EA8C: 7E0802FF 43700000
	v_mul_f32_e32 v121, v4, v121                               // 00000000EA94: 0AF2F304
	v_mov_b32_e32 v4, v121                                     // 00000000EA98: 7E080379
	v_mov_b32_e32 v5, v4                                       // 00000000EA9C: 7E0A0304
	v_pk_mul_f32 v[88:89], v[4:5], v[88:89]                    // 00000000EAA0: D3B14058 1802B104
	v_pk_mul_f32 v[90:91], v[4:5], v[90:91]                    // 00000000EAA8: D3B1405A 1802B504
	v_cvt_pk_fp8_f32 v88, v88, v89                             // 00000000EAB0: D2A20058 0002B358
	v_cvt_pk_fp8_f32 v88, v90, v91 op_sel:[0,0,1]              // 00000000EAB8: D2A24058 0002B75A
	v_pk_mul_f32 v[112:113], v[4:5], v[112:113]                // 00000000EAC0: D3B14070 1802E104
	v_pk_mul_f32 v[114:115], v[4:5], v[114:115]                // 00000000EAC8: D3B14072 1802E504
	v_cvt_pk_fp8_f32 v112, v112, v113                          // 00000000EAD0: D2A20070 0002E370
	v_cvt_pk_fp8_f32 v112, v114, v115 op_sel:[0,0,1]           // 00000000EAD8: D2A24070 0002E772
	v_rcp_f32_e32 v121, v121                                   // 00000000EAE0: 7EF24579
	v_lshrrev_b32_e32 v4, 5, v0                                // 00000000EAE4: 20080085
	v_mul_lo_u32 v20, 34, v4                                   // 00000000EAE8: D2850014 000208A2
	v_and_b32_e32 v4, 31, v0                                   // 00000000EAF0: 2608009F
	v_lshrrev_b32_e32 v5, 4, v4                                // 00000000EAF4: 200A0884
	v_add_u32_e32 v20, v5, v20                                 // 00000000EAF8: 68282905
	v_and_b32_e32 v4, 15, v0                                   // 00000000EAFC: 2608008F
	v_mul_lo_u32 v5, 2, v4                                     // 00000000EB00: D2850005 00020882
	v_add_u32_e32 v20, v5, v20                                 // 00000000EB08: 68282905
	s_mul_i32 s60, s7, 0x44                                    // 00000000EB0C: 923CFF07 00000044
	v_add_u32_e32 v20, s60, v20                                // 00000000EB14: 6828283C
	v_lshlrev_b32_e32 v20, 2, v20                              // 00000000EB18: 24282882
	ds_write_b32 v20, v68                                      // 00000000EB1C: D81A0000 00004414
	ds_write_b32 v20, v72 offset:2176                          // 00000000EB24: D81A0880 00004814
	ds_write_b32 v20, v76 offset:4352                          // 00000000EB2C: D81A1100 00004C14
	ds_write_b32 v20, v80 offset:6528                          // 00000000EB34: D81A1980 00005014
	ds_write_b32 v20, v84 offset:8704                          // 00000000EB3C: D81A2200 00005414
	ds_write_b32 v20, v88 offset:10880                         // 00000000EB44: D81A2A80 00005814
	ds_write_b32 v20, v92 offset:1088                          // 00000000EB4C: D81A0440 00005C14
	ds_write_b32 v20, v96 offset:3264                          // 00000000EB54: D81A0CC0 00006014
	ds_write_b32 v20, v100 offset:5440                         // 00000000EB5C: D81A1540 00006414
	ds_write_b32 v20, v104 offset:7616                         // 00000000EB64: D81A1DC0 00006814
	ds_write_b32 v20, v108 offset:9792                         // 00000000EB6C: D81A2640 00006C14
	ds_write_b32 v20, v112 offset:11968                        // 00000000EB74: D81A2EC0 00007014
	v_lshrrev_b32_e32 v4, 5, v0                                // 00000000EB7C: 20080085
	v_xor_b32_e32 v5, 1, v4                                    // 00000000EB80: 2A0A0881
	s_mul_i32 s60, s65, 1                                      // 00000000EB84: 923C8141
	s_cmp_eq_u32 s88, 0                                        // 00000000EB88: BF068058
	s_cselect_b32 s61, 1, 8                                    // 00000000EB8C: 853D8881
	s_mul_i32 s60, s61, s60                                    // 00000000EB90: 923C3C3D
	v_readlane_b32 s82, v3, 0                                  // 00000000EB94: D2890052 00010103
	s_lshr_b32 s61, s82, 24                                    // 00000000EB9C: 8F3D9852
	s_and_b32 s82, s82, 0xffffff                               // 00000000EBA0: 8652FF52 00FFFFFF
	s_mul_i32 s82, s82, s71                                    // 00000000EBA8: 92524752
	s_mul_i32 s61, s60, s61                                    // 00000000EBAC: 923D3D3C
	s_add_u32 s82, s82, s61                                    // 00000000EBB0: 80523D52
	v_mul_lo_u32 v6, v5, s82                                   // 00000000EBB4: D2850006 0000A505
	v_readlane_b32 s82, v3, 1                                  // 00000000EBBC: D2890052 00010303
	s_lshr_b32 s61, s82, 24                                    // 00000000EBC4: 8F3D9852
	s_and_b32 s82, s82, 0xffffff                               // 00000000EBC8: 8652FF52 00FFFFFF
	s_mul_i32 s82, s82, s71                                    // 00000000EBD0: 92524752
	s_mul_i32 s61, s60, s61                                    // 00000000EBD4: 923D3D3C
	s_add_u32 s82, s82, s61                                    // 00000000EBD8: 80523D52
	v_mul_lo_u32 v7, v4, s82                                   // 00000000EBDC: D2850007 0000A504
	v_add_u32_e32 v54, v6, v7                                  // 00000000EBE4: 686C0F06
	v_readlane_b32 s82, v3, 2                                  // 00000000EBE8: D2890052 00010503
	s_lshr_b32 s61, s82, 24                                    // 00000000EBF0: 8F3D9852
	s_and_b32 s82, s82, 0xffffff                               // 00000000EBF4: 8652FF52 00FFFFFF
	s_mul_i32 s82, s82, s71                                    // 00000000EBFC: 92524752
	s_mul_i32 s61, s60, s61                                    // 00000000EC00: 923D3D3C
	s_add_u32 s82, s82, s61                                    // 00000000EC04: 80523D52
	v_mul_lo_u32 v6, v5, s82                                   // 00000000EC08: D2850006 0000A505
	v_readlane_b32 s82, v3, 3                                  // 00000000EC10: D2890052 00010703
	s_lshr_b32 s61, s82, 24                                    // 00000000EC18: 8F3D9852
	s_and_b32 s82, s82, 0xffffff                               // 00000000EC1C: 8652FF52 00FFFFFF
	s_mul_i32 s82, s82, s71                                    // 00000000EC24: 92524752
	s_mul_i32 s61, s60, s61                                    // 00000000EC28: 923D3D3C
	s_add_u32 s82, s82, s61                                    // 00000000EC2C: 80523D52
	v_mul_lo_u32 v7, v4, s82                                   // 00000000EC30: D2850007 0000A504
	v_add_u32_e32 v55, v6, v7                                  // 00000000EC38: 686E0F06
	v_readlane_b32 s82, v3, 4                                  // 00000000EC3C: D2890052 00010903
	s_lshr_b32 s61, s82, 24                                    // 00000000EC44: 8F3D9852
	s_and_b32 s82, s82, 0xffffff                               // 00000000EC48: 8652FF52 00FFFFFF
	s_mul_i32 s82, s82, s71                                    // 00000000EC50: 92524752
	s_mul_i32 s61, s60, s61                                    // 00000000EC54: 923D3D3C
	s_add_u32 s82, s82, s61                                    // 00000000EC58: 80523D52
	v_mul_lo_u32 v6, v5, s82                                   // 00000000EC5C: D2850006 0000A505
	v_readlane_b32 s82, v3, 5                                  // 00000000EC64: D2890052 00010B03
	s_lshr_b32 s61, s82, 24                                    // 00000000EC6C: 8F3D9852
	s_and_b32 s82, s82, 0xffffff                               // 00000000EC70: 8652FF52 00FFFFFF
	s_mul_i32 s82, s82, s71                                    // 00000000EC78: 92524752
	s_mul_i32 s61, s60, s61                                    // 00000000EC7C: 923D3D3C
	s_add_u32 s82, s82, s61                                    // 00000000EC80: 80523D52
	v_mul_lo_u32 v7, v4, s82                                   // 00000000EC84: D2850007 0000A504
	v_add_u32_e32 v56, v6, v7                                  // 00000000EC8C: 68700F06
	v_readlane_b32 s82, v3, 6                                  // 00000000EC90: D2890052 00010D03
	s_lshr_b32 s61, s82, 24                                    // 00000000EC98: 8F3D9852
	s_and_b32 s82, s82, 0xffffff                               // 00000000EC9C: 8652FF52 00FFFFFF
	s_mul_i32 s82, s82, s71                                    // 00000000ECA4: 92524752
	s_mul_i32 s61, s60, s61                                    // 00000000ECA8: 923D3D3C
	s_add_u32 s82, s82, s61                                    // 00000000ECAC: 80523D52
	v_mul_lo_u32 v6, v5, s82                                   // 00000000ECB0: D2850006 0000A505
	v_readlane_b32 s82, v3, 7                                  // 00000000ECB8: D2890052 00010F03
	s_lshr_b32 s61, s82, 24                                    // 00000000ECC0: 8F3D9852
	s_and_b32 s82, s82, 0xffffff                               // 00000000ECC4: 8652FF52 00FFFFFF
	s_mul_i32 s82, s82, s71                                    // 00000000ECCC: 92524752
	s_mul_i32 s61, s60, s61                                    // 00000000ECD0: 923D3D3C
	s_add_u32 s82, s82, s61                                    // 00000000ECD4: 80523D52
	v_mul_lo_u32 v7, v4, s82                                   // 00000000ECD8: D2850007 0000A504
	v_add_u32_e32 v57, v6, v7                                  // 00000000ECE0: 68720F06
	v_readlane_b32 s82, v3, 8                                  // 00000000ECE4: D2890052 00011103
	s_lshr_b32 s61, s82, 24                                    // 00000000ECEC: 8F3D9852
	s_and_b32 s82, s82, 0xffffff                               // 00000000ECF0: 8652FF52 00FFFFFF
	s_mul_i32 s82, s82, s71                                    // 00000000ECF8: 92524752
	s_mul_i32 s61, s60, s61                                    // 00000000ECFC: 923D3D3C
	s_add_u32 s82, s82, s61                                    // 00000000ED00: 80523D52
	v_mul_lo_u32 v6, v5, s82                                   // 00000000ED04: D2850006 0000A505
	v_readlane_b32 s82, v3, 9                                  // 00000000ED0C: D2890052 00011303
	s_lshr_b32 s61, s82, 24                                    // 00000000ED14: 8F3D9852
	s_and_b32 s82, s82, 0xffffff                               // 00000000ED18: 8652FF52 00FFFFFF
	s_mul_i32 s82, s82, s71                                    // 00000000ED20: 92524752
	s_mul_i32 s61, s60, s61                                    // 00000000ED24: 923D3D3C
	s_add_u32 s82, s82, s61                                    // 00000000ED28: 80523D52
	v_mul_lo_u32 v7, v4, s82                                   // 00000000ED2C: D2850007 0000A504
	v_add_u32_e32 v58, v6, v7                                  // 00000000ED34: 68740F06
	v_readlane_b32 s82, v3, 10                                 // 00000000ED38: D2890052 00011503
	s_lshr_b32 s61, s82, 24                                    // 00000000ED40: 8F3D9852
	s_and_b32 s82, s82, 0xffffff                               // 00000000ED44: 8652FF52 00FFFFFF
	s_mul_i32 s82, s82, s71                                    // 00000000ED4C: 92524752
	s_mul_i32 s61, s60, s61                                    // 00000000ED50: 923D3D3C
	s_add_u32 s82, s82, s61                                    // 00000000ED54: 80523D52
	v_mul_lo_u32 v6, v5, s82                                   // 00000000ED58: D2850006 0000A505
	v_readlane_b32 s82, v3, 11                                 // 00000000ED60: D2890052 00011703
	s_lshr_b32 s61, s82, 24                                    // 00000000ED68: 8F3D9852
	s_and_b32 s82, s82, 0xffffff                               // 00000000ED6C: 8652FF52 00FFFFFF
	s_mul_i32 s82, s82, s71                                    // 00000000ED74: 92524752
	s_mul_i32 s61, s60, s61                                    // 00000000ED78: 923D3D3C
	s_add_u32 s82, s82, s61                                    // 00000000ED7C: 80523D52
	v_mul_lo_u32 v7, v4, s82                                   // 00000000ED80: D2850007 0000A504
	v_add_u32_e32 v59, v6, v7                                  // 00000000ED88: 68760F06
	v_readlane_b32 s82, v3, 12                                 // 00000000ED8C: D2890052 00011903
	s_lshr_b32 s61, s82, 24                                    // 00000000ED94: 8F3D9852
	s_and_b32 s82, s82, 0xffffff                               // 00000000ED98: 8652FF52 00FFFFFF
	s_mul_i32 s82, s82, s71                                    // 00000000EDA0: 92524752
	s_mul_i32 s61, s60, s61                                    // 00000000EDA4: 923D3D3C
	s_add_u32 s82, s82, s61                                    // 00000000EDA8: 80523D52
	v_mul_lo_u32 v6, v5, s82                                   // 00000000EDAC: D2850006 0000A505
	v_readlane_b32 s82, v3, 13                                 // 00000000EDB4: D2890052 00011B03
	s_lshr_b32 s61, s82, 24                                    // 00000000EDBC: 8F3D9852
	s_and_b32 s82, s82, 0xffffff                               // 00000000EDC0: 8652FF52 00FFFFFF
	s_mul_i32 s82, s82, s71                                    // 00000000EDC8: 92524752
	s_mul_i32 s61, s60, s61                                    // 00000000EDCC: 923D3D3C
	s_add_u32 s82, s82, s61                                    // 00000000EDD0: 80523D52
	v_mul_lo_u32 v7, v4, s82                                   // 00000000EDD4: D2850007 0000A504
	v_add_u32_e32 v60, v6, v7                                  // 00000000EDDC: 68780F06
	v_readlane_b32 s82, v3, 14                                 // 00000000EDE0: D2890052 00011D03
	s_lshr_b32 s61, s82, 24                                    // 00000000EDE8: 8F3D9852
	s_and_b32 s82, s82, 0xffffff                               // 00000000EDEC: 8652FF52 00FFFFFF
	s_mul_i32 s82, s82, s71                                    // 00000000EDF4: 92524752
	s_mul_i32 s61, s60, s61                                    // 00000000EDF8: 923D3D3C
	s_add_u32 s82, s82, s61                                    // 00000000EDFC: 80523D52
	v_mul_lo_u32 v6, v5, s82                                   // 00000000EE00: D2850006 0000A505
	v_readlane_b32 s82, v3, 15                                 // 00000000EE08: D2890052 00011F03
	s_lshr_b32 s61, s82, 24                                    // 00000000EE10: 8F3D9852
	s_and_b32 s82, s82, 0xffffff                               // 00000000EE14: 8652FF52 00FFFFFF
	s_mul_i32 s82, s82, s71                                    // 00000000EE1C: 92524752
	s_mul_i32 s61, s60, s61                                    // 00000000EE20: 923D3D3C
	s_add_u32 s82, s82, s61                                    // 00000000EE24: 80523D52
	v_mul_lo_u32 v7, v4, s82                                   // 00000000EE28: D2850007 0000A504
	v_add_u32_e32 v61, v6, v7                                  // 00000000EE30: 687A0F06
	v_readlane_b32 s82, v3, 16                                 // 00000000EE34: D2890052 00012103
	s_lshr_b32 s61, s82, 24                                    // 00000000EE3C: 8F3D9852
	s_and_b32 s82, s82, 0xffffff                               // 00000000EE40: 8652FF52 00FFFFFF
	s_mul_i32 s82, s82, s71                                    // 00000000EE48: 92524752
	s_mul_i32 s61, s60, s61                                    // 00000000EE4C: 923D3D3C
	s_add_u32 s82, s82, s61                                    // 00000000EE50: 80523D52
	v_mul_lo_u32 v6, v5, s82                                   // 00000000EE54: D2850006 0000A505
	v_readlane_b32 s82, v3, 17                                 // 00000000EE5C: D2890052 00012303
	s_lshr_b32 s61, s82, 24                                    // 00000000EE64: 8F3D9852
	s_and_b32 s82, s82, 0xffffff                               // 00000000EE68: 8652FF52 00FFFFFF
	s_mul_i32 s82, s82, s71                                    // 00000000EE70: 92524752
	s_mul_i32 s61, s60, s61                                    // 00000000EE74: 923D3D3C
	s_add_u32 s82, s82, s61                                    // 00000000EE78: 80523D52
	v_mul_lo_u32 v7, v4, s82                                   // 00000000EE7C: D2850007 0000A504
	v_add_u32_e32 v62, v6, v7                                  // 00000000EE84: 687C0F06
	v_readlane_b32 s82, v3, 18                                 // 00000000EE88: D2890052 00012503
	s_lshr_b32 s61, s82, 24                                    // 00000000EE90: 8F3D9852
	s_and_b32 s82, s82, 0xffffff                               // 00000000EE94: 8652FF52 00FFFFFF
	s_mul_i32 s82, s82, s71                                    // 00000000EE9C: 92524752
	s_mul_i32 s61, s60, s61                                    // 00000000EEA0: 923D3D3C
	s_add_u32 s82, s82, s61                                    // 00000000EEA4: 80523D52
	v_mul_lo_u32 v6, v5, s82                                   // 00000000EEA8: D2850006 0000A505
	v_readlane_b32 s82, v3, 19                                 // 00000000EEB0: D2890052 00012703
	s_lshr_b32 s61, s82, 24                                    // 00000000EEB8: 8F3D9852
	s_and_b32 s82, s82, 0xffffff                               // 00000000EEBC: 8652FF52 00FFFFFF
	s_mul_i32 s82, s82, s71                                    // 00000000EEC4: 92524752
	s_mul_i32 s61, s60, s61                                    // 00000000EEC8: 923D3D3C
	s_add_u32 s82, s82, s61                                    // 00000000EECC: 80523D52
	v_mul_lo_u32 v7, v4, s82                                   // 00000000EED0: D2850007 0000A504
	v_add_u32_e32 v63, v6, v7                                  // 00000000EED8: 687E0F06
	v_readlane_b32 s82, v3, 20                                 // 00000000EEDC: D2890052 00012903
	s_lshr_b32 s61, s82, 24                                    // 00000000EEE4: 8F3D9852
	s_and_b32 s82, s82, 0xffffff                               // 00000000EEE8: 8652FF52 00FFFFFF
	s_mul_i32 s82, s82, s71                                    // 00000000EEF0: 92524752
	s_mul_i32 s61, s60, s61                                    // 00000000EEF4: 923D3D3C
	s_add_u32 s82, s82, s61                                    // 00000000EEF8: 80523D52
	v_mul_lo_u32 v6, v5, s82                                   // 00000000EEFC: D2850006 0000A505
	v_readlane_b32 s82, v3, 21                                 // 00000000EF04: D2890052 00012B03
	s_lshr_b32 s61, s82, 24                                    // 00000000EF0C: 8F3D9852
	s_and_b32 s82, s82, 0xffffff                               // 00000000EF10: 8652FF52 00FFFFFF
	s_mul_i32 s82, s82, s71                                    // 00000000EF18: 92524752
	s_mul_i32 s61, s60, s61                                    // 00000000EF1C: 923D3D3C
	s_add_u32 s82, s82, s61                                    // 00000000EF20: 80523D52
	v_mul_lo_u32 v7, v4, s82                                   // 00000000EF24: D2850007 0000A504
	v_add_u32_e32 v64, v6, v7                                  // 00000000EF2C: 68800F06
	v_readlane_b32 s82, v3, 22                                 // 00000000EF30: D2890052 00012D03
	s_lshr_b32 s61, s82, 24                                    // 00000000EF38: 8F3D9852
	s_and_b32 s82, s82, 0xffffff                               // 00000000EF3C: 8652FF52 00FFFFFF
	s_mul_i32 s82, s82, s71                                    // 00000000EF44: 92524752
	s_mul_i32 s61, s60, s61                                    // 00000000EF48: 923D3D3C
	s_add_u32 s82, s82, s61                                    // 00000000EF4C: 80523D52
	v_mul_lo_u32 v6, v5, s82                                   // 00000000EF50: D2850006 0000A505
	v_readlane_b32 s82, v3, 23                                 // 00000000EF58: D2890052 00012F03
	s_lshr_b32 s61, s82, 24                                    // 00000000EF60: 8F3D9852
	s_and_b32 s82, s82, 0xffffff                               // 00000000EF64: 8652FF52 00FFFFFF
	s_mul_i32 s82, s82, s71                                    // 00000000EF6C: 92524752
	s_mul_i32 s61, s60, s61                                    // 00000000EF70: 923D3D3C
	s_add_u32 s82, s82, s61                                    // 00000000EF74: 80523D52
	v_mul_lo_u32 v7, v4, s82                                   // 00000000EF78: D2850007 0000A504
	v_add_u32_e32 v65, v6, v7                                  // 00000000EF80: 68820F06
	v_and_b32_e32 v4, 31, v0                                   // 00000000EF84: 2608009F
	v_lshrrev_b32_e32 v4, 1, v4                                // 00000000EF88: 20080881
	s_cmp_eq_u32 s88, 0                                        // 00000000EF8C: BF068058
	s_cselect_b32 s61, 2, 4                                    // 00000000EF90: 853D8482
	v_mul_lo_u32 v4, v4, s61                                   // 00000000EF94: D2850004 00007B04
	v_and_b32_e64 v5, v0, 1                                    // 00000000EF9C: D1130005 00010300
	v_add_u32_e32 v4, v4, v5                                   // 00000000EFA4: 68080B04
	v_lshlrev_b32_e32 v4, 2, v4                                // 00000000EFA8: 24080882
	v_add_u32_e32 v54, v54, v4                                 // 00000000EFAC: 686C0936
	v_add_u32_e32 v55, v55, v4                                 // 00000000EFB0: 686E0937
	v_add_u32_e32 v56, v56, v4                                 // 00000000EFB4: 68700938
	v_add_u32_e32 v57, v57, v4                                 // 00000000EFB8: 68720939
	v_add_u32_e32 v58, v58, v4                                 // 00000000EFBC: 6874093A
	v_add_u32_e32 v59, v59, v4                                 // 00000000EFC0: 6876093B
	v_add_u32_e32 v60, v60, v4                                 // 00000000EFC4: 6878093C
	v_add_u32_e32 v61, v61, v4                                 // 00000000EFC8: 687A093D
	v_add_u32_e32 v62, v62, v4                                 // 00000000EFCC: 687C093E
	v_add_u32_e32 v63, v63, v4                                 // 00000000EFD0: 687E093F
	v_add_u32_e32 v64, v64, v4                                 // 00000000EFD4: 68800940
	v_add_u32_e32 v65, v65, v4                                 // 00000000EFD8: 68820941
	s_waitcnt lgkmcnt(0)                                       // 00000000EFDC: BF8CC07F
	s_barrier                                                  // 00000000EFE0: BF8A0000
	ds_read_b32 v68, v21                                       // 00000000EFE4: D86C0000 44000015
	ds_read_b32 v69, v21 offset:64                             // 00000000EFEC: D86C0040 45000015
	ds_read_b32 v70, v21 offset:2176                           // 00000000EFF4: D86C0880 46000015
	ds_read_b32 v71, v21 offset:2240                           // 00000000EFFC: D86C08C0 47000015
	ds_read_b32 v72, v21 offset:4352                           // 00000000F004: D86C1100 48000015
	ds_read_b32 v73, v21 offset:4416                           // 00000000F00C: D86C1140 49000015
	ds_read_b32 v74, v21 offset:6528                           // 00000000F014: D86C1980 4A000015
	ds_read_b32 v75, v21 offset:6592                           // 00000000F01C: D86C19C0 4B000015
	ds_read_b32 v76, v21 offset:8704                           // 00000000F024: D86C2200 4C000015
	ds_read_b32 v77, v21 offset:8768                           // 00000000F02C: D86C2240 4D000015
	ds_read_b32 v78, v21 offset:10880                          // 00000000F034: D86C2A80 4E000015
	ds_read_b32 v79, v21 offset:10944                          // 00000000F03C: D86C2AC0 4F000015
	s_waitcnt lgkmcnt(0)                                       // 00000000F044: BF8CC07F
	s_mov_b32 s36, -1                                          // 00000000F048: BEA400C1
	s_mov_b32 s37, -1                                          // 00000000F04C: BEA500C1
	v_mov_b32_e32 v7, 0                                        // 00000000F050: 7E0E0280
	s_or_b32 s9, s9, 0x40000                                   // 00000000F054: 8709FF09 00040000
	s_mov_b64 exec, s[36:37]                                   // 00000000F05C: BEFE0124
	v_mov_b32_e32 v6, v54                                      // 00000000F060: 7E0C0336
	s_mov_b64 s[60:61], 0                                      // 00000000F064: BEBC0180
	v_readlane_b32 s82, v3, 0                                  // 00000000F068: D2890052 00010103
	s_and_b32 s82, s82, 0xffffff                               // 00000000F070: 8652FF52 00FFFFFF
	s_cmp_lt_u32 s82, s66                                      // 00000000F078: BF0A4252
	s_cselect_b32 s20, s36, s60                                // 00000000F07C: 85143C24
	v_readlane_b32 s82, v3, 1                                  // 00000000F080: D2890052 00010303
	s_and_b32 s82, s82, 0xffffff                               // 00000000F088: 8652FF52 00FFFFFF
	s_cmp_lt_u32 s82, s66                                      // 00000000F090: BF0A4252
	s_cselect_b32 s21, s36, s60                                // 00000000F094: 85153C24
	s_mov_b64 exec, s[20:21]                                   // 00000000F098: BEFE0114
	buffer_store_dword v68, v6, s[8:11], 0 offen               // 00000000F09C: E0701000 80024406
	s_mov_b64 exec, s[36:37]                                   // 00000000F0A4: BEFE0124
	v_mov_b32_e32 v6, v55                                      // 00000000F0A8: 7E0C0337
	s_mov_b64 s[60:61], 0                                      // 00000000F0AC: BEBC0180
	v_readlane_b32 s82, v3, 2                                  // 00000000F0B0: D2890052 00010503
	s_and_b32 s82, s82, 0xffffff                               // 00000000F0B8: 8652FF52 00FFFFFF
	s_cmp_lt_u32 s82, s66                                      // 00000000F0C0: BF0A4252
	s_cselect_b32 s20, s36, s60                                // 00000000F0C4: 85143C24
	v_readlane_b32 s82, v3, 3                                  // 00000000F0C8: D2890052 00010703
	s_and_b32 s82, s82, 0xffffff                               // 00000000F0D0: 8652FF52 00FFFFFF
	s_cmp_lt_u32 s82, s66                                      // 00000000F0D8: BF0A4252
	s_cselect_b32 s21, s36, s60                                // 00000000F0DC: 85153C24
	s_mov_b64 exec, s[20:21]                                   // 00000000F0E0: BEFE0114
	buffer_store_dword v69, v6, s[8:11], 0 offen               // 00000000F0E4: E0701000 80024506
	s_mov_b64 exec, s[36:37]                                   // 00000000F0EC: BEFE0124
	v_mov_b32_e32 v6, v56                                      // 00000000F0F0: 7E0C0338
	s_mov_b64 s[60:61], 0                                      // 00000000F0F4: BEBC0180
	v_readlane_b32 s82, v3, 4                                  // 00000000F0F8: D2890052 00010903
	s_and_b32 s82, s82, 0xffffff                               // 00000000F100: 8652FF52 00FFFFFF
	s_cmp_lt_u32 s82, s66                                      // 00000000F108: BF0A4252
	s_cselect_b32 s20, s36, s60                                // 00000000F10C: 85143C24
	v_readlane_b32 s82, v3, 5                                  // 00000000F110: D2890052 00010B03
	s_and_b32 s82, s82, 0xffffff                               // 00000000F118: 8652FF52 00FFFFFF
	s_cmp_lt_u32 s82, s66                                      // 00000000F120: BF0A4252
	s_cselect_b32 s21, s36, s60                                // 00000000F124: 85153C24
	s_mov_b64 exec, s[20:21]                                   // 00000000F128: BEFE0114
	buffer_store_dword v70, v6, s[8:11], 0 offen               // 00000000F12C: E0701000 80024606
	s_mov_b64 exec, s[36:37]                                   // 00000000F134: BEFE0124
	v_mov_b32_e32 v6, v57                                      // 00000000F138: 7E0C0339
	s_mov_b64 s[60:61], 0                                      // 00000000F13C: BEBC0180
	v_readlane_b32 s82, v3, 6                                  // 00000000F140: D2890052 00010D03
	s_and_b32 s82, s82, 0xffffff                               // 00000000F148: 8652FF52 00FFFFFF
	s_cmp_lt_u32 s82, s66                                      // 00000000F150: BF0A4252
	s_cselect_b32 s20, s36, s60                                // 00000000F154: 85143C24
	v_readlane_b32 s82, v3, 7                                  // 00000000F158: D2890052 00010F03
	s_and_b32 s82, s82, 0xffffff                               // 00000000F160: 8652FF52 00FFFFFF
	s_cmp_lt_u32 s82, s66                                      // 00000000F168: BF0A4252
	s_cselect_b32 s21, s36, s60                                // 00000000F16C: 85153C24
	s_mov_b64 exec, s[20:21]                                   // 00000000F170: BEFE0114
	buffer_store_dword v71, v6, s[8:11], 0 offen               // 00000000F174: E0701000 80024706
	s_mov_b64 exec, s[36:37]                                   // 00000000F17C: BEFE0124
	v_mov_b32_e32 v6, v58                                      // 00000000F180: 7E0C033A
	s_mov_b64 s[60:61], 0                                      // 00000000F184: BEBC0180
	v_readlane_b32 s82, v3, 8                                  // 00000000F188: D2890052 00011103
	s_and_b32 s82, s82, 0xffffff                               // 00000000F190: 8652FF52 00FFFFFF
	s_cmp_lt_u32 s82, s66                                      // 00000000F198: BF0A4252
	s_cselect_b32 s20, s36, s60                                // 00000000F19C: 85143C24
	v_readlane_b32 s82, v3, 9                                  // 00000000F1A0: D2890052 00011303
	s_and_b32 s82, s82, 0xffffff                               // 00000000F1A8: 8652FF52 00FFFFFF
	s_cmp_lt_u32 s82, s66                                      // 00000000F1B0: BF0A4252
	s_cselect_b32 s21, s36, s60                                // 00000000F1B4: 85153C24
	s_mov_b64 exec, s[20:21]                                   // 00000000F1B8: BEFE0114
	buffer_store_dword v72, v6, s[8:11], 0 offen               // 00000000F1BC: E0701000 80024806
	s_mov_b64 exec, s[36:37]                                   // 00000000F1C4: BEFE0124
	v_mov_b32_e32 v6, v59                                      // 00000000F1C8: 7E0C033B
	s_mov_b64 s[60:61], 0                                      // 00000000F1CC: BEBC0180
	v_readlane_b32 s82, v3, 10                                 // 00000000F1D0: D2890052 00011503
	s_and_b32 s82, s82, 0xffffff                               // 00000000F1D8: 8652FF52 00FFFFFF
	s_cmp_lt_u32 s82, s66                                      // 00000000F1E0: BF0A4252
	s_cselect_b32 s20, s36, s60                                // 00000000F1E4: 85143C24
	v_readlane_b32 s82, v3, 11                                 // 00000000F1E8: D2890052 00011703
	s_and_b32 s82, s82, 0xffffff                               // 00000000F1F0: 8652FF52 00FFFFFF
	s_cmp_lt_u32 s82, s66                                      // 00000000F1F8: BF0A4252
	s_cselect_b32 s21, s36, s60                                // 00000000F1FC: 85153C24
	s_mov_b64 exec, s[20:21]                                   // 00000000F200: BEFE0114
	buffer_store_dword v73, v6, s[8:11], 0 offen               // 00000000F204: E0701000 80024906
	s_mov_b64 exec, s[36:37]                                   // 00000000F20C: BEFE0124
	v_mov_b32_e32 v6, v60                                      // 00000000F210: 7E0C033C
	s_mov_b64 s[60:61], 0                                      // 00000000F214: BEBC0180
	v_readlane_b32 s82, v3, 12                                 // 00000000F218: D2890052 00011903
	s_and_b32 s82, s82, 0xffffff                               // 00000000F220: 8652FF52 00FFFFFF
	s_cmp_lt_u32 s82, s66                                      // 00000000F228: BF0A4252
	s_cselect_b32 s20, s36, s60                                // 00000000F22C: 85143C24
	v_readlane_b32 s82, v3, 13                                 // 00000000F230: D2890052 00011B03
	s_and_b32 s82, s82, 0xffffff                               // 00000000F238: 8652FF52 00FFFFFF
	s_cmp_lt_u32 s82, s66                                      // 00000000F240: BF0A4252
	s_cselect_b32 s21, s36, s60                                // 00000000F244: 85153C24
	s_mov_b64 exec, s[20:21]                                   // 00000000F248: BEFE0114
	buffer_store_dword v74, v6, s[8:11], 0 offen               // 00000000F24C: E0701000 80024A06
	s_mov_b64 exec, s[36:37]                                   // 00000000F254: BEFE0124
	v_mov_b32_e32 v6, v61                                      // 00000000F258: 7E0C033D
	s_mov_b64 s[60:61], 0                                      // 00000000F25C: BEBC0180
	v_readlane_b32 s82, v3, 14                                 // 00000000F260: D2890052 00011D03
	s_and_b32 s82, s82, 0xffffff                               // 00000000F268: 8652FF52 00FFFFFF
	s_cmp_lt_u32 s82, s66                                      // 00000000F270: BF0A4252
	s_cselect_b32 s20, s36, s60                                // 00000000F274: 85143C24
	v_readlane_b32 s82, v3, 15                                 // 00000000F278: D2890052 00011F03
	s_and_b32 s82, s82, 0xffffff                               // 00000000F280: 8652FF52 00FFFFFF
	s_cmp_lt_u32 s82, s66                                      // 00000000F288: BF0A4252
	s_cselect_b32 s21, s36, s60                                // 00000000F28C: 85153C24
	s_mov_b64 exec, s[20:21]                                   // 00000000F290: BEFE0114
	buffer_store_dword v75, v6, s[8:11], 0 offen               // 00000000F294: E0701000 80024B06
	s_mov_b64 exec, s[36:37]                                   // 00000000F29C: BEFE0124
	v_mov_b32_e32 v6, v62                                      // 00000000F2A0: 7E0C033E
	s_mov_b64 s[60:61], 0                                      // 00000000F2A4: BEBC0180
	v_readlane_b32 s82, v3, 16                                 // 00000000F2A8: D2890052 00012103
	s_and_b32 s82, s82, 0xffffff                               // 00000000F2B0: 8652FF52 00FFFFFF
	s_cmp_lt_u32 s82, s66                                      // 00000000F2B8: BF0A4252
	s_cselect_b32 s20, s36, s60                                // 00000000F2BC: 85143C24
	v_readlane_b32 s82, v3, 17                                 // 00000000F2C0: D2890052 00012303
	s_and_b32 s82, s82, 0xffffff                               // 00000000F2C8: 8652FF52 00FFFFFF
	s_cmp_lt_u32 s82, s66                                      // 00000000F2D0: BF0A4252
	s_cselect_b32 s21, s36, s60                                // 00000000F2D4: 85153C24
	s_mov_b64 exec, s[20:21]                                   // 00000000F2D8: BEFE0114
	buffer_store_dword v76, v6, s[8:11], 0 offen               // 00000000F2DC: E0701000 80024C06
	s_mov_b64 exec, s[36:37]                                   // 00000000F2E4: BEFE0124
	v_mov_b32_e32 v6, v63                                      // 00000000F2E8: 7E0C033F
	s_mov_b64 s[60:61], 0                                      // 00000000F2EC: BEBC0180
	v_readlane_b32 s82, v3, 18                                 // 00000000F2F0: D2890052 00012503
	s_and_b32 s82, s82, 0xffffff                               // 00000000F2F8: 8652FF52 00FFFFFF
	s_cmp_lt_u32 s82, s66                                      // 00000000F300: BF0A4252
	s_cselect_b32 s20, s36, s60                                // 00000000F304: 85143C24
	v_readlane_b32 s82, v3, 19                                 // 00000000F308: D2890052 00012703
	s_and_b32 s82, s82, 0xffffff                               // 00000000F310: 8652FF52 00FFFFFF
	s_cmp_lt_u32 s82, s66                                      // 00000000F318: BF0A4252
	s_cselect_b32 s21, s36, s60                                // 00000000F31C: 85153C24
	s_mov_b64 exec, s[20:21]                                   // 00000000F320: BEFE0114
	buffer_store_dword v77, v6, s[8:11], 0 offen               // 00000000F324: E0701000 80024D06
	s_mov_b64 exec, s[36:37]                                   // 00000000F32C: BEFE0124
	v_mov_b32_e32 v6, v64                                      // 00000000F330: 7E0C0340
	s_mov_b64 s[60:61], 0                                      // 00000000F334: BEBC0180
	v_readlane_b32 s82, v3, 20                                 // 00000000F338: D2890052 00012903
	s_and_b32 s82, s82, 0xffffff                               // 00000000F340: 8652FF52 00FFFFFF
	s_cmp_lt_u32 s82, s66                                      // 00000000F348: BF0A4252
	s_cselect_b32 s20, s36, s60                                // 00000000F34C: 85143C24
	v_readlane_b32 s82, v3, 21                                 // 00000000F350: D2890052 00012B03
	s_and_b32 s82, s82, 0xffffff                               // 00000000F358: 8652FF52 00FFFFFF
	s_cmp_lt_u32 s82, s66                                      // 00000000F360: BF0A4252
	s_cselect_b32 s21, s36, s60                                // 00000000F364: 85153C24
	s_mov_b64 exec, s[20:21]                                   // 00000000F368: BEFE0114
	buffer_store_dword v78, v6, s[8:11], 0 offen               // 00000000F36C: E0701000 80024E06
	s_mov_b64 exec, s[36:37]                                   // 00000000F374: BEFE0124
	v_mov_b32_e32 v6, v65                                      // 00000000F378: 7E0C0341
	s_mov_b64 s[60:61], 0                                      // 00000000F37C: BEBC0180
	v_readlane_b32 s82, v3, 22                                 // 00000000F380: D2890052 00012D03
	s_and_b32 s82, s82, 0xffffff                               // 00000000F388: 8652FF52 00FFFFFF
	s_cmp_lt_u32 s82, s66                                      // 00000000F390: BF0A4252
	s_cselect_b32 s20, s36, s60                                // 00000000F394: 85143C24
	v_readlane_b32 s82, v3, 23                                 // 00000000F398: D2890052 00012F03
	s_and_b32 s82, s82, 0xffffff                               // 00000000F3A0: 8652FF52 00FFFFFF
	s_cmp_lt_u32 s82, s66                                      // 00000000F3A8: BF0A4252
	s_cselect_b32 s21, s36, s60                                // 00000000F3AC: 85153C24
	s_mov_b64 exec, s[20:21]                                   // 00000000F3B0: BEFE0114
	buffer_store_dword v79, v6, s[8:11], 0 offen               // 00000000F3B4: E0701000 80024F06
	s_mov_b64 exec, s[36:37]                                   // 00000000F3BC: BEFE0124
	s_cmp_eq_u32 s7, 0                                         // 00000000F3C0: BF068007
	s_cbranch_scc0 label_38D8                                  // 00000000F3C4: BF840663
	s_waitcnt vmcnt(12)                                        // 00000000F3C8: BF8C0F7C
	s_mov_b32 s8, s90                                          // 00000000F3CC: BE88005A
	s_mov_b32 s9, s91                                          // 00000000F3D0: BE89005B
	s_mul_i32 s60, s66, s71                                    // 00000000F3D4: 923C4742
	s_add_u32 s8, s60, s8                                      // 00000000F3D8: 8008083C
	s_addc_u32 s9, 0, s9                                       // 00000000F3DC: 82090980
	s_lshr_b32 s71, s71, 5                                     // 00000000F3E0: 8F478547
	s_mul_i32 s60, s66, s71                                    // 00000000F3E4: 923C4742
	s_mov_b32 s10, s60                                         // 00000000F3E8: BE8A003C
	s_lshr_b32 s61, s65, 5                                     // 00000000F3EC: 8F3D8541
	s_mul_i32 s60, s2, 4                                       // 00000000F3F0: 923C8402
	v_lshrrev_b32_e32 v4, 24, v30                              // 00000000F3F4: 20083C98
	v_mul_lo_u32 v4, s61, v4                                   // 00000000F3F8: D2850004 0002083D
	v_and_b32_e32 v30, 0xffffff, v30                           // 00000000F400: 263C3CFF 00FFFFFF
	v_mul_lo_u32 v30, s71, v30                                 // 00000000F408: D285001E 00023C47
	v_add_u32_e32 v30, v4, v30                                 // 00000000F410: 683C3D04
	v_add_u32_e32 v30, s60, v30                                // 00000000F414: 683C3C3C
	v_lshrrev_b32_e32 v4, 24, v31                              // 00000000F418: 20083E98
	v_mul_lo_u32 v4, s61, v4                                   // 00000000F41C: D2850004 0002083D
	v_and_b32_e32 v31, 0xffffff, v31                           // 00000000F424: 263E3EFF 00FFFFFF
	v_mul_lo_u32 v31, s71, v31                                 // 00000000F42C: D285001F 00023E47
	v_add_u32_e32 v31, v4, v31                                 // 00000000F434: 683E3F04
	v_add_u32_e32 v31, s60, v31                                // 00000000F438: 683E3E3C
	v_lshrrev_b32_e32 v4, 24, v32                              // 00000000F43C: 20084098
	v_mul_lo_u32 v4, s61, v4                                   // 00000000F440: D2850004 0002083D
	v_and_b32_e32 v32, 0xffffff, v32                           // 00000000F448: 264040FF 00FFFFFF
	v_mul_lo_u32 v32, s71, v32                                 // 00000000F450: D2850020 00024047
	v_add_u32_e32 v32, v4, v32                                 // 00000000F458: 68404104
	v_add_u32_e32 v32, s60, v32                                // 00000000F45C: 6840403C
	v_lshrrev_b32_e32 v4, 24, v33                              // 00000000F460: 20084298
	v_mul_lo_u32 v4, s61, v4                                   // 00000000F464: D2850004 0002083D
	v_and_b32_e32 v33, 0xffffff, v33                           // 00000000F46C: 264242FF 00FFFFFF
	v_mul_lo_u32 v33, s71, v33                                 // 00000000F474: D2850021 00024247
	v_add_u32_e32 v33, v4, v33                                 // 00000000F47C: 68424304
	v_add_u32_e32 v33, s60, v33                                // 00000000F480: 6842423C
	v_lshrrev_b32_e32 v4, 24, v34                              // 00000000F484: 20084498
	v_mul_lo_u32 v4, s61, v4                                   // 00000000F488: D2850004 0002083D
	v_and_b32_e32 v34, 0xffffff, v34                           // 00000000F490: 264444FF 00FFFFFF
	v_mul_lo_u32 v34, s71, v34                                 // 00000000F498: D2850022 00024447
	v_add_u32_e32 v34, v4, v34                                 // 00000000F4A0: 68444504
	v_add_u32_e32 v34, s60, v34                                // 00000000F4A4: 6844443C
	v_lshrrev_b32_e32 v4, 24, v35                              // 00000000F4A8: 20084698
	v_mul_lo_u32 v4, s61, v4                                   // 00000000F4AC: D2850004 0002083D
	v_and_b32_e32 v35, 0xffffff, v35                           // 00000000F4B4: 264646FF 00FFFFFF
	v_mul_lo_u32 v35, s71, v35                                 // 00000000F4BC: D2850023 00024647
	v_add_u32_e32 v35, v4, v35                                 // 00000000F4C4: 68464704
	v_add_u32_e32 v35, s60, v35                                // 00000000F4C8: 6846463C
	s_mov_b64 exec, 0xffff                                     // 00000000F4CC: BEFE01FF 0000FFFF
	buffer_store_dword v116, v30, s[8:11], 0 offen             // 00000000F4D4: E0701000 8002741E
	buffer_store_dword v117, v31, s[8:11], 0 offen             // 00000000F4DC: E0701000 8002751F
	buffer_store_dword v118, v32, s[8:11], 0 offen             // 00000000F4E4: E0701000 80027620
	buffer_store_dword v119, v33, s[8:11], 0 offen             // 00000000F4EC: E0701000 80027721
	buffer_store_dword v120, v34, s[8:11], 0 offen             // 00000000F4F4: E0701000 80027822
	buffer_store_dword v121, v35, s[8:11], 0 offen             // 00000000F4FC: E0701000 80027923
	s_mov_b64 exec, s[36:37]                                   // 00000000F504: BEFE0124
	s_branch label_38D8                                        // 00000000F508: BF820612

000000000000f50c <label_32C6>:
	ds_write_b64 v20, v[68:69]                                 // 00000000F50C: D89A0000 00004414
	ds_write_b64 v20, v[72:73] offset:4352                     // 00000000F514: D89A1100 00004814
	ds_write_b64 v20, v[76:77] offset:8704                     // 00000000F51C: D89A2200 00004C14
	ds_write_b64 v20, v[80:81] offset:13056                    // 00000000F524: D89A3300 00005014
	ds_write_b64 v20, v[84:85] offset:17408                    // 00000000F52C: D89A4400 00005414
	ds_write_b64 v20, v[88:89] offset:21760                    // 00000000F534: D89A5500 00005814
	ds_write_b64 v20, v[92:93] offset:2176                     // 00000000F53C: D89A0880 00005C14
	ds_write_b64 v20, v[96:97] offset:6528                     // 00000000F544: D89A1980 00006014
	ds_write_b64 v20, v[100:101] offset:10880                  // 00000000F54C: D89A2A80 00006414
	ds_write_b64 v20, v[104:105] offset:15232                  // 00000000F554: D89A3B80 00006814
	ds_write_b64 v20, v[108:109] offset:19584                  // 00000000F55C: D89A4C80 00006C14
	ds_write_b64 v20, v[112:113] offset:23936                  // 00000000F564: D89A5D80 00007014
	v_lshrrev_b32_e32 v4, 5, v0                                // 00000000F56C: 20080085
	v_xor_b32_e32 v5, 1, v4                                    // 00000000F570: 2A0A0881
	s_mul_i32 s60, s65, 1                                      // 00000000F574: 923C8141
	s_cmp_eq_u32 s88, 0                                        // 00000000F578: BF068058
	s_cselect_b32 s61, 1, 8                                    // 00000000F57C: 853D8881
	s_mul_i32 s60, s61, s60                                    // 00000000F580: 923C3C3D
	v_readlane_b32 s82, v3, 0                                  // 00000000F584: D2890052 00010103
	s_lshr_b32 s61, s82, 24                                    // 00000000F58C: 8F3D9852
	s_and_b32 s82, s82, 0xffffff                               // 00000000F590: 8652FF52 00FFFFFF
	s_mul_i32 s82, s82, s71                                    // 00000000F598: 92524752
	s_mul_i32 s61, s60, s61                                    // 00000000F59C: 923D3D3C
	s_add_u32 s82, s82, s61                                    // 00000000F5A0: 80523D52
	v_mul_lo_u32 v6, v5, s82                                   // 00000000F5A4: D2850006 0000A505
	v_readlane_b32 s82, v3, 1                                  // 00000000F5AC: D2890052 00010303
	s_lshr_b32 s61, s82, 24                                    // 00000000F5B4: 8F3D9852
	s_and_b32 s82, s82, 0xffffff                               // 00000000F5B8: 8652FF52 00FFFFFF
	s_mul_i32 s82, s82, s71                                    // 00000000F5C0: 92524752
	s_mul_i32 s61, s60, s61                                    // 00000000F5C4: 923D3D3C
	s_add_u32 s82, s82, s61                                    // 00000000F5C8: 80523D52
	v_mul_lo_u32 v7, v4, s82                                   // 00000000F5CC: D2850007 0000A504
	v_add_u32_e32 v54, v6, v7                                  // 00000000F5D4: 686C0F06
	v_readlane_b32 s82, v3, 2                                  // 00000000F5D8: D2890052 00010503
	s_lshr_b32 s61, s82, 24                                    // 00000000F5E0: 8F3D9852
	s_and_b32 s82, s82, 0xffffff                               // 00000000F5E4: 8652FF52 00FFFFFF
	s_mul_i32 s82, s82, s71                                    // 00000000F5EC: 92524752
	s_mul_i32 s61, s60, s61                                    // 00000000F5F0: 923D3D3C
	s_add_u32 s82, s82, s61                                    // 00000000F5F4: 80523D52
	v_mul_lo_u32 v6, v5, s82                                   // 00000000F5F8: D2850006 0000A505
	v_readlane_b32 s82, v3, 3                                  // 00000000F600: D2890052 00010703
	s_lshr_b32 s61, s82, 24                                    // 00000000F608: 8F3D9852
	s_and_b32 s82, s82, 0xffffff                               // 00000000F60C: 8652FF52 00FFFFFF
	s_mul_i32 s82, s82, s71                                    // 00000000F614: 92524752
	s_mul_i32 s61, s60, s61                                    // 00000000F618: 923D3D3C
	s_add_u32 s82, s82, s61                                    // 00000000F61C: 80523D52
	v_mul_lo_u32 v7, v4, s82                                   // 00000000F620: D2850007 0000A504
	v_add_u32_e32 v55, v6, v7                                  // 00000000F628: 686E0F06
	v_readlane_b32 s82, v3, 4                                  // 00000000F62C: D2890052 00010903
	s_lshr_b32 s61, s82, 24                                    // 00000000F634: 8F3D9852
	s_and_b32 s82, s82, 0xffffff                               // 00000000F638: 8652FF52 00FFFFFF
	s_mul_i32 s82, s82, s71                                    // 00000000F640: 92524752
	s_mul_i32 s61, s60, s61                                    // 00000000F644: 923D3D3C
	s_add_u32 s82, s82, s61                                    // 00000000F648: 80523D52
	v_mul_lo_u32 v6, v5, s82                                   // 00000000F64C: D2850006 0000A505
	v_readlane_b32 s82, v3, 5                                  // 00000000F654: D2890052 00010B03
	s_lshr_b32 s61, s82, 24                                    // 00000000F65C: 8F3D9852
	s_and_b32 s82, s82, 0xffffff                               // 00000000F660: 8652FF52 00FFFFFF
	s_mul_i32 s82, s82, s71                                    // 00000000F668: 92524752
	s_mul_i32 s61, s60, s61                                    // 00000000F66C: 923D3D3C
	s_add_u32 s82, s82, s61                                    // 00000000F670: 80523D52
	v_mul_lo_u32 v7, v4, s82                                   // 00000000F674: D2850007 0000A504
	v_add_u32_e32 v56, v6, v7                                  // 00000000F67C: 68700F06
	v_readlane_b32 s82, v3, 6                                  // 00000000F680: D2890052 00010D03
	s_lshr_b32 s61, s82, 24                                    // 00000000F688: 8F3D9852
	s_and_b32 s82, s82, 0xffffff                               // 00000000F68C: 8652FF52 00FFFFFF
	s_mul_i32 s82, s82, s71                                    // 00000000F694: 92524752
	s_mul_i32 s61, s60, s61                                    // 00000000F698: 923D3D3C
	s_add_u32 s82, s82, s61                                    // 00000000F69C: 80523D52
	v_mul_lo_u32 v6, v5, s82                                   // 00000000F6A0: D2850006 0000A505
	v_readlane_b32 s82, v3, 7                                  // 00000000F6A8: D2890052 00010F03
	s_lshr_b32 s61, s82, 24                                    // 00000000F6B0: 8F3D9852
	s_and_b32 s82, s82, 0xffffff                               // 00000000F6B4: 8652FF52 00FFFFFF
	s_mul_i32 s82, s82, s71                                    // 00000000F6BC: 92524752
	s_mul_i32 s61, s60, s61                                    // 00000000F6C0: 923D3D3C
	s_add_u32 s82, s82, s61                                    // 00000000F6C4: 80523D52
	v_mul_lo_u32 v7, v4, s82                                   // 00000000F6C8: D2850007 0000A504
	v_add_u32_e32 v57, v6, v7                                  // 00000000F6D0: 68720F06
	v_readlane_b32 s82, v3, 8                                  // 00000000F6D4: D2890052 00011103
	s_lshr_b32 s61, s82, 24                                    // 00000000F6DC: 8F3D9852
	s_and_b32 s82, s82, 0xffffff                               // 00000000F6E0: 8652FF52 00FFFFFF
	s_mul_i32 s82, s82, s71                                    // 00000000F6E8: 92524752
	s_mul_i32 s61, s60, s61                                    // 00000000F6EC: 923D3D3C
	s_add_u32 s82, s82, s61                                    // 00000000F6F0: 80523D52
	v_mul_lo_u32 v6, v5, s82                                   // 00000000F6F4: D2850006 0000A505
	v_readlane_b32 s82, v3, 9                                  // 00000000F6FC: D2890052 00011303
	s_lshr_b32 s61, s82, 24                                    // 00000000F704: 8F3D9852
	s_and_b32 s82, s82, 0xffffff                               // 00000000F708: 8652FF52 00FFFFFF
	s_mul_i32 s82, s82, s71                                    // 00000000F710: 92524752
	s_mul_i32 s61, s60, s61                                    // 00000000F714: 923D3D3C
	s_add_u32 s82, s82, s61                                    // 00000000F718: 80523D52
	v_mul_lo_u32 v7, v4, s82                                   // 00000000F71C: D2850007 0000A504
	v_add_u32_e32 v58, v6, v7                                  // 00000000F724: 68740F06
	v_readlane_b32 s82, v3, 10                                 // 00000000F728: D2890052 00011503
	s_lshr_b32 s61, s82, 24                                    // 00000000F730: 8F3D9852
	s_and_b32 s82, s82, 0xffffff                               // 00000000F734: 8652FF52 00FFFFFF
	s_mul_i32 s82, s82, s71                                    // 00000000F73C: 92524752
	s_mul_i32 s61, s60, s61                                    // 00000000F740: 923D3D3C
	s_add_u32 s82, s82, s61                                    // 00000000F744: 80523D52
	v_mul_lo_u32 v6, v5, s82                                   // 00000000F748: D2850006 0000A505
	v_readlane_b32 s82, v3, 11                                 // 00000000F750: D2890052 00011703
	s_lshr_b32 s61, s82, 24                                    // 00000000F758: 8F3D9852
	s_and_b32 s82, s82, 0xffffff                               // 00000000F75C: 8652FF52 00FFFFFF
	s_mul_i32 s82, s82, s71                                    // 00000000F764: 92524752
	s_mul_i32 s61, s60, s61                                    // 00000000F768: 923D3D3C
	s_add_u32 s82, s82, s61                                    // 00000000F76C: 80523D52
	v_mul_lo_u32 v7, v4, s82                                   // 00000000F770: D2850007 0000A504
	v_add_u32_e32 v59, v6, v7                                  // 00000000F778: 68760F06
	v_readlane_b32 s82, v3, 12                                 // 00000000F77C: D2890052 00011903
	s_lshr_b32 s61, s82, 24                                    // 00000000F784: 8F3D9852
	s_and_b32 s82, s82, 0xffffff                               // 00000000F788: 8652FF52 00FFFFFF
	s_mul_i32 s82, s82, s71                                    // 00000000F790: 92524752
	s_mul_i32 s61, s60, s61                                    // 00000000F794: 923D3D3C
	s_add_u32 s82, s82, s61                                    // 00000000F798: 80523D52
	v_mul_lo_u32 v6, v5, s82                                   // 00000000F79C: D2850006 0000A505
	v_readlane_b32 s82, v3, 13                                 // 00000000F7A4: D2890052 00011B03
	s_lshr_b32 s61, s82, 24                                    // 00000000F7AC: 8F3D9852
	s_and_b32 s82, s82, 0xffffff                               // 00000000F7B0: 8652FF52 00FFFFFF
	s_mul_i32 s82, s82, s71                                    // 00000000F7B8: 92524752
	s_mul_i32 s61, s60, s61                                    // 00000000F7BC: 923D3D3C
	s_add_u32 s82, s82, s61                                    // 00000000F7C0: 80523D52
	v_mul_lo_u32 v7, v4, s82                                   // 00000000F7C4: D2850007 0000A504
	v_add_u32_e32 v60, v6, v7                                  // 00000000F7CC: 68780F06
	v_readlane_b32 s82, v3, 14                                 // 00000000F7D0: D2890052 00011D03
	s_lshr_b32 s61, s82, 24                                    // 00000000F7D8: 8F3D9852
	s_and_b32 s82, s82, 0xffffff                               // 00000000F7DC: 8652FF52 00FFFFFF
	s_mul_i32 s82, s82, s71                                    // 00000000F7E4: 92524752
	s_mul_i32 s61, s60, s61                                    // 00000000F7E8: 923D3D3C
	s_add_u32 s82, s82, s61                                    // 00000000F7EC: 80523D52
	v_mul_lo_u32 v6, v5, s82                                   // 00000000F7F0: D2850006 0000A505
	v_readlane_b32 s82, v3, 15                                 // 00000000F7F8: D2890052 00011F03
	s_lshr_b32 s61, s82, 24                                    // 00000000F800: 8F3D9852
	s_and_b32 s82, s82, 0xffffff                               // 00000000F804: 8652FF52 00FFFFFF
	s_mul_i32 s82, s82, s71                                    // 00000000F80C: 92524752
	s_mul_i32 s61, s60, s61                                    // 00000000F810: 923D3D3C
	s_add_u32 s82, s82, s61                                    // 00000000F814: 80523D52
	v_mul_lo_u32 v7, v4, s82                                   // 00000000F818: D2850007 0000A504
	v_add_u32_e32 v61, v6, v7                                  // 00000000F820: 687A0F06
	v_readlane_b32 s82, v3, 16                                 // 00000000F824: D2890052 00012103
	s_lshr_b32 s61, s82, 24                                    // 00000000F82C: 8F3D9852
	s_and_b32 s82, s82, 0xffffff                               // 00000000F830: 8652FF52 00FFFFFF
	s_mul_i32 s82, s82, s71                                    // 00000000F838: 92524752
	s_mul_i32 s61, s60, s61                                    // 00000000F83C: 923D3D3C
	s_add_u32 s82, s82, s61                                    // 00000000F840: 80523D52
	v_mul_lo_u32 v6, v5, s82                                   // 00000000F844: D2850006 0000A505
	v_readlane_b32 s82, v3, 17                                 // 00000000F84C: D2890052 00012303
	s_lshr_b32 s61, s82, 24                                    // 00000000F854: 8F3D9852
	s_and_b32 s82, s82, 0xffffff                               // 00000000F858: 8652FF52 00FFFFFF
	s_mul_i32 s82, s82, s71                                    // 00000000F860: 92524752
	s_mul_i32 s61, s60, s61                                    // 00000000F864: 923D3D3C
	s_add_u32 s82, s82, s61                                    // 00000000F868: 80523D52
	v_mul_lo_u32 v7, v4, s82                                   // 00000000F86C: D2850007 0000A504
	v_add_u32_e32 v62, v6, v7                                  // 00000000F874: 687C0F06
	v_readlane_b32 s82, v3, 18                                 // 00000000F878: D2890052 00012503
	s_lshr_b32 s61, s82, 24                                    // 00000000F880: 8F3D9852
	s_and_b32 s82, s82, 0xffffff                               // 00000000F884: 8652FF52 00FFFFFF
	s_mul_i32 s82, s82, s71                                    // 00000000F88C: 92524752
	s_mul_i32 s61, s60, s61                                    // 00000000F890: 923D3D3C
	s_add_u32 s82, s82, s61                                    // 00000000F894: 80523D52
	v_mul_lo_u32 v6, v5, s82                                   // 00000000F898: D2850006 0000A505
	v_readlane_b32 s82, v3, 19                                 // 00000000F8A0: D2890052 00012703
	s_lshr_b32 s61, s82, 24                                    // 00000000F8A8: 8F3D9852
	s_and_b32 s82, s82, 0xffffff                               // 00000000F8AC: 8652FF52 00FFFFFF
	s_mul_i32 s82, s82, s71                                    // 00000000F8B4: 92524752
	s_mul_i32 s61, s60, s61                                    // 00000000F8B8: 923D3D3C
	s_add_u32 s82, s82, s61                                    // 00000000F8BC: 80523D52
	v_mul_lo_u32 v7, v4, s82                                   // 00000000F8C0: D2850007 0000A504
	v_add_u32_e32 v63, v6, v7                                  // 00000000F8C8: 687E0F06
	v_readlane_b32 s82, v3, 20                                 // 00000000F8CC: D2890052 00012903
	s_lshr_b32 s61, s82, 24                                    // 00000000F8D4: 8F3D9852
	s_and_b32 s82, s82, 0xffffff                               // 00000000F8D8: 8652FF52 00FFFFFF
	s_mul_i32 s82, s82, s71                                    // 00000000F8E0: 92524752
	s_mul_i32 s61, s60, s61                                    // 00000000F8E4: 923D3D3C
	s_add_u32 s82, s82, s61                                    // 00000000F8E8: 80523D52
	v_mul_lo_u32 v6, v5, s82                                   // 00000000F8EC: D2850006 0000A505
	v_readlane_b32 s82, v3, 21                                 // 00000000F8F4: D2890052 00012B03
	s_lshr_b32 s61, s82, 24                                    // 00000000F8FC: 8F3D9852
	s_and_b32 s82, s82, 0xffffff                               // 00000000F900: 8652FF52 00FFFFFF
	s_mul_i32 s82, s82, s71                                    // 00000000F908: 92524752
	s_mul_i32 s61, s60, s61                                    // 00000000F90C: 923D3D3C
	s_add_u32 s82, s82, s61                                    // 00000000F910: 80523D52
	v_mul_lo_u32 v7, v4, s82                                   // 00000000F914: D2850007 0000A504
	v_add_u32_e32 v64, v6, v7                                  // 00000000F91C: 68800F06
	v_readlane_b32 s82, v3, 22                                 // 00000000F920: D2890052 00012D03
	s_lshr_b32 s61, s82, 24                                    // 00000000F928: 8F3D9852
	s_and_b32 s82, s82, 0xffffff                               // 00000000F92C: 8652FF52 00FFFFFF
	s_mul_i32 s82, s82, s71                                    // 00000000F934: 92524752
	s_mul_i32 s61, s60, s61                                    // 00000000F938: 923D3D3C
	s_add_u32 s82, s82, s61                                    // 00000000F93C: 80523D52
	v_mul_lo_u32 v6, v5, s82                                   // 00000000F940: D2850006 0000A505
	v_readlane_b32 s82, v3, 23                                 // 00000000F948: D2890052 00012F03
	s_lshr_b32 s61, s82, 24                                    // 00000000F950: 8F3D9852
	s_and_b32 s82, s82, 0xffffff                               // 00000000F954: 8652FF52 00FFFFFF
	s_mul_i32 s82, s82, s71                                    // 00000000F95C: 92524752
	s_mul_i32 s61, s60, s61                                    // 00000000F960: 923D3D3C
	s_add_u32 s82, s82, s61                                    // 00000000F964: 80523D52
	v_mul_lo_u32 v7, v4, s82                                   // 00000000F968: D2850007 0000A504
	v_add_u32_e32 v65, v6, v7                                  // 00000000F970: 68820F06
	v_and_b32_e32 v4, 31, v0                                   // 00000000F974: 2608009F
	v_lshrrev_b32_e32 v4, 1, v4                                // 00000000F978: 20080881
	s_cmp_eq_u32 s88, 0                                        // 00000000F97C: BF068058
	s_cselect_b32 s61, 2, 4                                    // 00000000F980: 853D8482
	v_mul_lo_u32 v4, v4, s61                                   // 00000000F984: D2850004 00007B04
	v_and_b32_e64 v5, v0, 1                                    // 00000000F98C: D1130005 00010300
	v_add_u32_e32 v4, v4, v5                                   // 00000000F994: 68080B04
	v_lshlrev_b32_e32 v4, 2, v4                                // 00000000F998: 24080882
	v_add_u32_e32 v54, v54, v4                                 // 00000000F99C: 686C0936
	v_add_u32_e32 v55, v55, v4                                 // 00000000F9A0: 686E0937
	v_add_u32_e32 v56, v56, v4                                 // 00000000F9A4: 68700938
	v_add_u32_e32 v57, v57, v4                                 // 00000000F9A8: 68720939
	v_add_u32_e32 v58, v58, v4                                 // 00000000F9AC: 6874093A
	v_add_u32_e32 v59, v59, v4                                 // 00000000F9B0: 6876093B
	v_add_u32_e32 v60, v60, v4                                 // 00000000F9B4: 6878093C
	v_add_u32_e32 v61, v61, v4                                 // 00000000F9B8: 687A093D
	v_add_u32_e32 v62, v62, v4                                 // 00000000F9BC: 687C093E
	v_add_u32_e32 v63, v63, v4                                 // 00000000F9C0: 687E093F
	v_add_u32_e32 v64, v64, v4                                 // 00000000F9C4: 68800940
	v_add_u32_e32 v65, v65, v4                                 // 00000000F9C8: 68820941
	s_waitcnt lgkmcnt(0)                                       // 00000000F9CC: BF8CC07F
	s_barrier                                                  // 00000000F9D0: BF8A0000
	ds_read_b32 v68, v21                                       // 00000000F9D4: D86C0000 44000015
	ds_read_b32 v69, v21 offset:64                             // 00000000F9DC: D86C0040 45000015
	ds_read_b32 v72, v21 offset:2176                           // 00000000F9E4: D86C0880 48000015
	ds_read_b32 v73, v21 offset:2240                           // 00000000F9EC: D86C08C0 49000015
	ds_read_b32 v76, v21 offset:4352                           // 00000000F9F4: D86C1100 4C000015
	ds_read_b32 v77, v21 offset:4416                           // 00000000F9FC: D86C1140 4D000015
	ds_read_b32 v80, v21 offset:6528                           // 00000000FA04: D86C1980 50000015
	ds_read_b32 v81, v21 offset:6592                           // 00000000FA0C: D86C19C0 51000015
	ds_read_b32 v84, v21 offset:8704                           // 00000000FA14: D86C2200 54000015
	ds_read_b32 v85, v21 offset:8768                           // 00000000FA1C: D86C2240 55000015
	ds_read_b32 v88, v21 offset:10880                          // 00000000FA24: D86C2A80 58000015
	ds_read_b32 v89, v21 offset:10944                          // 00000000FA2C: D86C2AC0 59000015
	ds_read_b32 v92, v21 offset:13056                          // 00000000FA34: D86C3300 5C000015
	ds_read_b32 v93, v21 offset:13120                          // 00000000FA3C: D86C3340 5D000015
	ds_read_b32 v96, v21 offset:15232                          // 00000000FA44: D86C3B80 60000015
	ds_read_b32 v97, v21 offset:15296                          // 00000000FA4C: D86C3BC0 61000015
	ds_read_b32 v100, v21 offset:17408                         // 00000000FA54: D86C4400 64000015
	ds_read_b32 v101, v21 offset:17472                         // 00000000FA5C: D86C4440 65000015
	ds_read_b32 v104, v21 offset:19584                         // 00000000FA64: D86C4C80 68000015
	ds_read_b32 v105, v21 offset:19648                         // 00000000FA6C: D86C4CC0 69000015
	ds_read_b32 v108, v21 offset:21760                         // 00000000FA74: D86C5500 6C000015
	ds_read_b32 v109, v21 offset:21824                         // 00000000FA7C: D86C5540 6D000015
	ds_read_b32 v112, v21 offset:23936                         // 00000000FA84: D86C5D80 70000015
	ds_read_b32 v113, v21 offset:24000                         // 00000000FA8C: D86C5DC0 71000015
	s_waitcnt lgkmcnt(0)                                       // 00000000FA94: BF8CC07F
	s_mov_b32 s36, -1                                          // 00000000FA98: BEA400C1
	s_mov_b32 s37, -1                                          // 00000000FA9C: BEA500C1
	v_mov_b32_e32 v7, 0                                        // 00000000FAA0: 7E0E0280
	s_mov_b64 exec, s[36:37]                                   // 00000000FAA4: BEFE0124
	v_mov_b32_e32 v6, v54                                      // 00000000FAA8: 7E0C0336
	s_mov_b64 s[60:61], 0                                      // 00000000FAAC: BEBC0180
	v_readlane_b32 s82, v3, 0                                  // 00000000FAB0: D2890052 00010103
	s_and_b32 s82, s82, 0xffffff                               // 00000000FAB8: 8652FF52 00FFFFFF
	s_cmp_lt_u32 s82, s66                                      // 00000000FAC0: BF0A4252
	s_cselect_b32 s20, s36, s60                                // 00000000FAC4: 85143C24
	v_readlane_b32 s82, v3, 1                                  // 00000000FAC8: D2890052 00010303
	s_and_b32 s82, s82, 0xffffff                               // 00000000FAD0: 8652FF52 00FFFFFF
	s_cmp_lt_u32 s82, s66                                      // 00000000FAD8: BF0A4252
	s_cselect_b32 s21, s36, s60                                // 00000000FADC: 85153C24
	s_mov_b64 exec, s[20:21]                                   // 00000000FAE0: BEFE0114
	global_atomic_add_f32 v6, v68, s[8:9]                      // 00000000FAE4: DD348000 00084406
	global_atomic_add_f32 v6, v72, s[8:9] offset:256           // 00000000FAEC: DD348100 00084806
	s_mov_b64 exec, s[36:37]                                   // 00000000FAF4: BEFE0124
	v_mov_b32_e32 v6, v55                                      // 00000000FAF8: 7E0C0337
	s_mov_b64 s[60:61], 0                                      // 00000000FAFC: BEBC0180
	v_readlane_b32 s82, v3, 2                                  // 00000000FB00: D2890052 00010503
	s_and_b32 s82, s82, 0xffffff                               // 00000000FB08: 8652FF52 00FFFFFF
	s_cmp_lt_u32 s82, s66                                      // 00000000FB10: BF0A4252
	s_cselect_b32 s20, s36, s60                                // 00000000FB14: 85143C24
	v_readlane_b32 s82, v3, 3                                  // 00000000FB18: D2890052 00010703
	s_and_b32 s82, s82, 0xffffff                               // 00000000FB20: 8652FF52 00FFFFFF
	s_cmp_lt_u32 s82, s66                                      // 00000000FB28: BF0A4252
	s_cselect_b32 s21, s36, s60                                // 00000000FB2C: 85153C24
	s_mov_b64 exec, s[20:21]                                   // 00000000FB30: BEFE0114
	global_atomic_add_f32 v6, v69, s[8:9]                      // 00000000FB34: DD348000 00084506
	global_atomic_add_f32 v6, v73, s[8:9] offset:256           // 00000000FB3C: DD348100 00084906
	s_mov_b64 exec, s[36:37]                                   // 00000000FB44: BEFE0124
	v_mov_b32_e32 v6, v56                                      // 00000000FB48: 7E0C0338
	s_mov_b64 s[60:61], 0                                      // 00000000FB4C: BEBC0180
	v_readlane_b32 s82, v3, 4                                  // 00000000FB50: D2890052 00010903
	s_and_b32 s82, s82, 0xffffff                               // 00000000FB58: 8652FF52 00FFFFFF
	s_cmp_lt_u32 s82, s66                                      // 00000000FB60: BF0A4252
	s_cselect_b32 s20, s36, s60                                // 00000000FB64: 85143C24
	v_readlane_b32 s82, v3, 5                                  // 00000000FB68: D2890052 00010B03
	s_and_b32 s82, s82, 0xffffff                               // 00000000FB70: 8652FF52 00FFFFFF
	s_cmp_lt_u32 s82, s66                                      // 00000000FB78: BF0A4252
	s_cselect_b32 s21, s36, s60                                // 00000000FB7C: 85153C24
	s_mov_b64 exec, s[20:21]                                   // 00000000FB80: BEFE0114
	global_atomic_add_f32 v6, v76, s[8:9]                      // 00000000FB84: DD348000 00084C06
	global_atomic_add_f32 v6, v80, s[8:9] offset:256           // 00000000FB8C: DD348100 00085006
	s_mov_b64 exec, s[36:37]                                   // 00000000FB94: BEFE0124
	v_mov_b32_e32 v6, v57                                      // 00000000FB98: 7E0C0339
	s_mov_b64 s[60:61], 0                                      // 00000000FB9C: BEBC0180
	v_readlane_b32 s82, v3, 6                                  // 00000000FBA0: D2890052 00010D03
	s_and_b32 s82, s82, 0xffffff                               // 00000000FBA8: 8652FF52 00FFFFFF
	s_cmp_lt_u32 s82, s66                                      // 00000000FBB0: BF0A4252
	s_cselect_b32 s20, s36, s60                                // 00000000FBB4: 85143C24
	v_readlane_b32 s82, v3, 7                                  // 00000000FBB8: D2890052 00010F03
	s_and_b32 s82, s82, 0xffffff                               // 00000000FBC0: 8652FF52 00FFFFFF
	s_cmp_lt_u32 s82, s66                                      // 00000000FBC8: BF0A4252
	s_cselect_b32 s21, s36, s60                                // 00000000FBCC: 85153C24
	s_mov_b64 exec, s[20:21]                                   // 00000000FBD0: BEFE0114
	global_atomic_add_f32 v6, v77, s[8:9]                      // 00000000FBD4: DD348000 00084D06
	global_atomic_add_f32 v6, v81, s[8:9] offset:256           // 00000000FBDC: DD348100 00085106
	s_mov_b64 exec, s[36:37]                                   // 00000000FBE4: BEFE0124
	v_mov_b32_e32 v6, v58                                      // 00000000FBE8: 7E0C033A
	s_mov_b64 s[60:61], 0                                      // 00000000FBEC: BEBC0180
	v_readlane_b32 s82, v3, 8                                  // 00000000FBF0: D2890052 00011103
	s_and_b32 s82, s82, 0xffffff                               // 00000000FBF8: 8652FF52 00FFFFFF
	s_cmp_lt_u32 s82, s66                                      // 00000000FC00: BF0A4252
	s_cselect_b32 s20, s36, s60                                // 00000000FC04: 85143C24
	v_readlane_b32 s82, v3, 9                                  // 00000000FC08: D2890052 00011303
	s_and_b32 s82, s82, 0xffffff                               // 00000000FC10: 8652FF52 00FFFFFF
	s_cmp_lt_u32 s82, s66                                      // 00000000FC18: BF0A4252
	s_cselect_b32 s21, s36, s60                                // 00000000FC1C: 85153C24
	s_mov_b64 exec, s[20:21]                                   // 00000000FC20: BEFE0114
	global_atomic_add_f32 v6, v84, s[8:9]                      // 00000000FC24: DD348000 00085406
	global_atomic_add_f32 v6, v88, s[8:9] offset:256           // 00000000FC2C: DD348100 00085806
	s_mov_b64 exec, s[36:37]                                   // 00000000FC34: BEFE0124
	v_mov_b32_e32 v6, v59                                      // 00000000FC38: 7E0C033B
	s_mov_b64 s[60:61], 0                                      // 00000000FC3C: BEBC0180
	v_readlane_b32 s82, v3, 10                                 // 00000000FC40: D2890052 00011503
	s_and_b32 s82, s82, 0xffffff                               // 00000000FC48: 8652FF52 00FFFFFF
	s_cmp_lt_u32 s82, s66                                      // 00000000FC50: BF0A4252
	s_cselect_b32 s20, s36, s60                                // 00000000FC54: 85143C24
	v_readlane_b32 s82, v3, 11                                 // 00000000FC58: D2890052 00011703
	s_and_b32 s82, s82, 0xffffff                               // 00000000FC60: 8652FF52 00FFFFFF
	s_cmp_lt_u32 s82, s66                                      // 00000000FC68: BF0A4252
	s_cselect_b32 s21, s36, s60                                // 00000000FC6C: 85153C24
	s_mov_b64 exec, s[20:21]                                   // 00000000FC70: BEFE0114
	global_atomic_add_f32 v6, v85, s[8:9]                      // 00000000FC74: DD348000 00085506
	global_atomic_add_f32 v6, v89, s[8:9] offset:256           // 00000000FC7C: DD348100 00085906
	s_mov_b64 exec, s[36:37]                                   // 00000000FC84: BEFE0124
	v_mov_b32_e32 v6, v60                                      // 00000000FC88: 7E0C033C
	s_mov_b64 s[60:61], 0                                      // 00000000FC8C: BEBC0180
	v_readlane_b32 s82, v3, 12                                 // 00000000FC90: D2890052 00011903
	s_and_b32 s82, s82, 0xffffff                               // 00000000FC98: 8652FF52 00FFFFFF
	s_cmp_lt_u32 s82, s66                                      // 00000000FCA0: BF0A4252
	s_cselect_b32 s20, s36, s60                                // 00000000FCA4: 85143C24
	v_readlane_b32 s82, v3, 13                                 // 00000000FCA8: D2890052 00011B03
	s_and_b32 s82, s82, 0xffffff                               // 00000000FCB0: 8652FF52 00FFFFFF
	s_cmp_lt_u32 s82, s66                                      // 00000000FCB8: BF0A4252
	s_cselect_b32 s21, s36, s60                                // 00000000FCBC: 85153C24
	s_mov_b64 exec, s[20:21]                                   // 00000000FCC0: BEFE0114
	global_atomic_add_f32 v6, v92, s[8:9]                      // 00000000FCC4: DD348000 00085C06
	global_atomic_add_f32 v6, v96, s[8:9] offset:256           // 00000000FCCC: DD348100 00086006
	s_mov_b64 exec, s[36:37]                                   // 00000000FCD4: BEFE0124
	v_mov_b32_e32 v6, v61                                      // 00000000FCD8: 7E0C033D
	s_mov_b64 s[60:61], 0                                      // 00000000FCDC: BEBC0180
	v_readlane_b32 s82, v3, 14                                 // 00000000FCE0: D2890052 00011D03
	s_and_b32 s82, s82, 0xffffff                               // 00000000FCE8: 8652FF52 00FFFFFF
	s_cmp_lt_u32 s82, s66                                      // 00000000FCF0: BF0A4252
	s_cselect_b32 s20, s36, s60                                // 00000000FCF4: 85143C24
	v_readlane_b32 s82, v3, 15                                 // 00000000FCF8: D2890052 00011F03
	s_and_b32 s82, s82, 0xffffff                               // 00000000FD00: 8652FF52 00FFFFFF
	s_cmp_lt_u32 s82, s66                                      // 00000000FD08: BF0A4252
	s_cselect_b32 s21, s36, s60                                // 00000000FD0C: 85153C24
	s_mov_b64 exec, s[20:21]                                   // 00000000FD10: BEFE0114
	global_atomic_add_f32 v6, v93, s[8:9]                      // 00000000FD14: DD348000 00085D06
	global_atomic_add_f32 v6, v97, s[8:9] offset:256           // 00000000FD1C: DD348100 00086106
	s_mov_b64 exec, s[36:37]                                   // 00000000FD24: BEFE0124
	v_mov_b32_e32 v6, v62                                      // 00000000FD28: 7E0C033E
	s_mov_b64 s[60:61], 0                                      // 00000000FD2C: BEBC0180
	v_readlane_b32 s82, v3, 16                                 // 00000000FD30: D2890052 00012103
	s_and_b32 s82, s82, 0xffffff                               // 00000000FD38: 8652FF52 00FFFFFF
	s_cmp_lt_u32 s82, s66                                      // 00000000FD40: BF0A4252
	s_cselect_b32 s20, s36, s60                                // 00000000FD44: 85143C24
	v_readlane_b32 s82, v3, 17                                 // 00000000FD48: D2890052 00012303
	s_and_b32 s82, s82, 0xffffff                               // 00000000FD50: 8652FF52 00FFFFFF
	s_cmp_lt_u32 s82, s66                                      // 00000000FD58: BF0A4252
	s_cselect_b32 s21, s36, s60                                // 00000000FD5C: 85153C24
	s_mov_b64 exec, s[20:21]                                   // 00000000FD60: BEFE0114
	global_atomic_add_f32 v6, v100, s[8:9]                     // 00000000FD64: DD348000 00086406
	global_atomic_add_f32 v6, v104, s[8:9] offset:256          // 00000000FD6C: DD348100 00086806
	s_mov_b64 exec, s[36:37]                                   // 00000000FD74: BEFE0124
	v_mov_b32_e32 v6, v63                                      // 00000000FD78: 7E0C033F
	s_mov_b64 s[60:61], 0                                      // 00000000FD7C: BEBC0180
	v_readlane_b32 s82, v3, 18                                 // 00000000FD80: D2890052 00012503
	s_and_b32 s82, s82, 0xffffff                               // 00000000FD88: 8652FF52 00FFFFFF
	s_cmp_lt_u32 s82, s66                                      // 00000000FD90: BF0A4252
	s_cselect_b32 s20, s36, s60                                // 00000000FD94: 85143C24
	v_readlane_b32 s82, v3, 19                                 // 00000000FD98: D2890052 00012703
	s_and_b32 s82, s82, 0xffffff                               // 00000000FDA0: 8652FF52 00FFFFFF
	s_cmp_lt_u32 s82, s66                                      // 00000000FDA8: BF0A4252
	s_cselect_b32 s21, s36, s60                                // 00000000FDAC: 85153C24
	s_mov_b64 exec, s[20:21]                                   // 00000000FDB0: BEFE0114
	global_atomic_add_f32 v6, v101, s[8:9]                     // 00000000FDB4: DD348000 00086506
	global_atomic_add_f32 v6, v105, s[8:9] offset:256          // 00000000FDBC: DD348100 00086906
	s_mov_b64 exec, s[36:37]                                   // 00000000FDC4: BEFE0124
	v_mov_b32_e32 v6, v64                                      // 00000000FDC8: 7E0C0340
	s_mov_b64 s[60:61], 0                                      // 00000000FDCC: BEBC0180
	v_readlane_b32 s82, v3, 20                                 // 00000000FDD0: D2890052 00012903
	s_and_b32 s82, s82, 0xffffff                               // 00000000FDD8: 8652FF52 00FFFFFF
	s_cmp_lt_u32 s82, s66                                      // 00000000FDE0: BF0A4252
	s_cselect_b32 s20, s36, s60                                // 00000000FDE4: 85143C24
	v_readlane_b32 s82, v3, 21                                 // 00000000FDE8: D2890052 00012B03
	s_and_b32 s82, s82, 0xffffff                               // 00000000FDF0: 8652FF52 00FFFFFF
	s_cmp_lt_u32 s82, s66                                      // 00000000FDF8: BF0A4252
	s_cselect_b32 s21, s36, s60                                // 00000000FDFC: 85153C24
	s_mov_b64 exec, s[20:21]                                   // 00000000FE00: BEFE0114
	global_atomic_add_f32 v6, v108, s[8:9]                     // 00000000FE04: DD348000 00086C06
	global_atomic_add_f32 v6, v112, s[8:9] offset:256          // 00000000FE0C: DD348100 00087006
	s_mov_b64 exec, s[36:37]                                   // 00000000FE14: BEFE0124
	v_mov_b32_e32 v6, v65                                      // 00000000FE18: 7E0C0341
	s_mov_b64 s[60:61], 0                                      // 00000000FE1C: BEBC0180
	v_readlane_b32 s82, v3, 22                                 // 00000000FE20: D2890052 00012D03
	s_and_b32 s82, s82, 0xffffff                               // 00000000FE28: 8652FF52 00FFFFFF
	s_cmp_lt_u32 s82, s66                                      // 00000000FE30: BF0A4252
	s_cselect_b32 s20, s36, s60                                // 00000000FE34: 85143C24
	v_readlane_b32 s82, v3, 23                                 // 00000000FE38: D2890052 00012F03
	s_and_b32 s82, s82, 0xffffff                               // 00000000FE40: 8652FF52 00FFFFFF
	s_cmp_lt_u32 s82, s66                                      // 00000000FE48: BF0A4252
	s_cselect_b32 s21, s36, s60                                // 00000000FE4C: 85153C24
	s_mov_b64 exec, s[20:21]                                   // 00000000FE50: BEFE0114
	global_atomic_add_f32 v6, v109, s[8:9]                     // 00000000FE54: DD348000 00086D06
	global_atomic_add_f32 v6, v113, s[8:9] offset:256          // 00000000FE5C: DD348100 00087106
	s_mov_b64 exec, s[36:37]                                   // 00000000FE64: BEFE0124
	ds_write_b64 v20, v[70:71]                                 // 00000000FE68: D89A0000 00004614
	ds_write_b64 v20, v[74:75] offset:4352                     // 00000000FE70: D89A1100 00004A14
	ds_write_b64 v20, v[78:79] offset:8704                     // 00000000FE78: D89A2200 00004E14
	ds_write_b64 v20, v[82:83] offset:13056                    // 00000000FE80: D89A3300 00005214
	ds_write_b64 v20, v[86:87] offset:17408                    // 00000000FE88: D89A4400 00005614
	ds_write_b64 v20, v[90:91] offset:21760                    // 00000000FE90: D89A5500 00005A14
	ds_write_b64 v20, v[94:95] offset:2176                     // 00000000FE98: D89A0880 00005E14
	ds_write_b64 v20, v[98:99] offset:6528                     // 00000000FEA0: D89A1980 00006214
	ds_write_b64 v20, v[102:103] offset:10880                  // 00000000FEA8: D89A2A80 00006614
	ds_write_b64 v20, v[106:107] offset:15232                  // 00000000FEB0: D89A3B80 00006A14
	ds_write_b64 v20, v[110:111] offset:19584                  // 00000000FEB8: D89A4C80 00006E14
	ds_write_b64 v20, v[114:115] offset:23936                  // 00000000FEC0: D89A5D80 00007214
	s_waitcnt lgkmcnt(0)                                       // 00000000FEC8: BF8CC07F
	s_barrier                                                  // 00000000FECC: BF8A0000
	ds_read_b32 v70, v21                                       // 00000000FED0: D86C0000 46000015
	ds_read_b32 v71, v21 offset:64                             // 00000000FED8: D86C0040 47000015
	ds_read_b32 v74, v21 offset:2176                           // 00000000FEE0: D86C0880 4A000015
	ds_read_b32 v75, v21 offset:2240                           // 00000000FEE8: D86C08C0 4B000015
	ds_read_b32 v78, v21 offset:4352                           // 00000000FEF0: D86C1100 4E000015
	ds_read_b32 v79, v21 offset:4416                           // 00000000FEF8: D86C1140 4F000015
	ds_read_b32 v82, v21 offset:6528                           // 00000000FF00: D86C1980 52000015
	ds_read_b32 v83, v21 offset:6592                           // 00000000FF08: D86C19C0 53000015
	ds_read_b32 v86, v21 offset:8704                           // 00000000FF10: D86C2200 56000015
	ds_read_b32 v87, v21 offset:8768                           // 00000000FF18: D86C2240 57000015
	ds_read_b32 v90, v21 offset:10880                          // 00000000FF20: D86C2A80 5A000015
	ds_read_b32 v91, v21 offset:10944                          // 00000000FF28: D86C2AC0 5B000015
	ds_read_b32 v94, v21 offset:13056                          // 00000000FF30: D86C3300 5E000015
	ds_read_b32 v95, v21 offset:13120                          // 00000000FF38: D86C3340 5F000015
	ds_read_b32 v98, v21 offset:15232                          // 00000000FF40: D86C3B80 62000015
	ds_read_b32 v99, v21 offset:15296                          // 00000000FF48: D86C3BC0 63000015
	ds_read_b32 v102, v21 offset:17408                         // 00000000FF50: D86C4400 66000015
	ds_read_b32 v103, v21 offset:17472                         // 00000000FF58: D86C4440 67000015
	ds_read_b32 v106, v21 offset:19584                         // 00000000FF60: D86C4C80 6A000015
	ds_read_b32 v107, v21 offset:19648                         // 00000000FF68: D86C4CC0 6B000015
	ds_read_b32 v110, v21 offset:21760                         // 00000000FF70: D86C5500 6E000015
	ds_read_b32 v111, v21 offset:21824                         // 00000000FF78: D86C5540 6F000015
	ds_read_b32 v114, v21 offset:23936                         // 00000000FF80: D86C5D80 72000015
	ds_read_b32 v115, v21 offset:24000                         // 00000000FF88: D86C5DC0 73000015
	s_waitcnt lgkmcnt(0)                                       // 00000000FF90: BF8CC07F
	v_mov_b32_e32 v7, 0                                        // 00000000FF94: 7E0E0280
	s_mov_b64 exec, s[36:37]                                   // 00000000FF98: BEFE0124
	v_mov_b32_e32 v6, v54                                      // 00000000FF9C: 7E0C0336
	s_mov_b64 s[60:61], 0                                      // 00000000FFA0: BEBC0180
	v_readlane_b32 s82, v3, 0                                  // 00000000FFA4: D2890052 00010103
	s_and_b32 s82, s82, 0xffffff                               // 00000000FFAC: 8652FF52 00FFFFFF
	s_cmp_lt_u32 s82, s66                                      // 00000000FFB4: BF0A4252
	s_cselect_b32 s20, s36, s60                                // 00000000FFB8: 85143C24
	v_readlane_b32 s82, v3, 1                                  // 00000000FFBC: D2890052 00010303
	s_and_b32 s82, s82, 0xffffff                               // 00000000FFC4: 8652FF52 00FFFFFF
	s_cmp_lt_u32 s82, s66                                      // 00000000FFCC: BF0A4252
	s_cselect_b32 s21, s36, s60                                // 00000000FFD0: 85153C24
	s_mov_b64 exec, s[20:21]                                   // 00000000FFD4: BEFE0114
	global_atomic_add_f32 v6, v70, s[8:9] offset:8             // 00000000FFD8: DD348008 00084606
	global_atomic_add_f32 v6, v74, s[8:9] offset:264           // 00000000FFE0: DD348108 00084A06
	s_mov_b64 exec, s[36:37]                                   // 00000000FFE8: BEFE0124
	v_mov_b32_e32 v6, v55                                      // 00000000FFEC: 7E0C0337
	s_mov_b64 s[60:61], 0                                      // 00000000FFF0: BEBC0180
	v_readlane_b32 s82, v3, 2                                  // 00000000FFF4: D2890052 00010503
	s_and_b32 s82, s82, 0xffffff                               // 00000000FFFC: 8652FF52 00FFFFFF
	s_cmp_lt_u32 s82, s66                                      // 000000010004: BF0A4252
	s_cselect_b32 s20, s36, s60                                // 000000010008: 85143C24
	v_readlane_b32 s82, v3, 3                                  // 00000001000C: D2890052 00010703
	s_and_b32 s82, s82, 0xffffff                               // 000000010014: 8652FF52 00FFFFFF
	s_cmp_lt_u32 s82, s66                                      // 00000001001C: BF0A4252
	s_cselect_b32 s21, s36, s60                                // 000000010020: 85153C24
	s_mov_b64 exec, s[20:21]                                   // 000000010024: BEFE0114
	global_atomic_add_f32 v6, v71, s[8:9] offset:8             // 000000010028: DD348008 00084706
	global_atomic_add_f32 v6, v75, s[8:9] offset:264           // 000000010030: DD348108 00084B06
	s_mov_b64 exec, s[36:37]                                   // 000000010038: BEFE0124
	v_mov_b32_e32 v6, v56                                      // 00000001003C: 7E0C0338
	s_mov_b64 s[60:61], 0                                      // 000000010040: BEBC0180
	v_readlane_b32 s82, v3, 4                                  // 000000010044: D2890052 00010903
	s_and_b32 s82, s82, 0xffffff                               // 00000001004C: 8652FF52 00FFFFFF
	s_cmp_lt_u32 s82, s66                                      // 000000010054: BF0A4252
	s_cselect_b32 s20, s36, s60                                // 000000010058: 85143C24
	v_readlane_b32 s82, v3, 5                                  // 00000001005C: D2890052 00010B03
	s_and_b32 s82, s82, 0xffffff                               // 000000010064: 8652FF52 00FFFFFF
	s_cmp_lt_u32 s82, s66                                      // 00000001006C: BF0A4252
	s_cselect_b32 s21, s36, s60                                // 000000010070: 85153C24
	s_mov_b64 exec, s[20:21]                                   // 000000010074: BEFE0114
	global_atomic_add_f32 v6, v78, s[8:9] offset:8             // 000000010078: DD348008 00084E06
	global_atomic_add_f32 v6, v82, s[8:9] offset:264           // 000000010080: DD348108 00085206
	s_mov_b64 exec, s[36:37]                                   // 000000010088: BEFE0124
	v_mov_b32_e32 v6, v57                                      // 00000001008C: 7E0C0339
	s_mov_b64 s[60:61], 0                                      // 000000010090: BEBC0180
	v_readlane_b32 s82, v3, 6                                  // 000000010094: D2890052 00010D03
	s_and_b32 s82, s82, 0xffffff                               // 00000001009C: 8652FF52 00FFFFFF
	s_cmp_lt_u32 s82, s66                                      // 0000000100A4: BF0A4252
	s_cselect_b32 s20, s36, s60                                // 0000000100A8: 85143C24
	v_readlane_b32 s82, v3, 7                                  // 0000000100AC: D2890052 00010F03
	s_and_b32 s82, s82, 0xffffff                               // 0000000100B4: 8652FF52 00FFFFFF
	s_cmp_lt_u32 s82, s66                                      // 0000000100BC: BF0A4252
	s_cselect_b32 s21, s36, s60                                // 0000000100C0: 85153C24
	s_mov_b64 exec, s[20:21]                                   // 0000000100C4: BEFE0114
	global_atomic_add_f32 v6, v79, s[8:9] offset:8             // 0000000100C8: DD348008 00084F06
	global_atomic_add_f32 v6, v83, s[8:9] offset:264           // 0000000100D0: DD348108 00085306
	s_mov_b64 exec, s[36:37]                                   // 0000000100D8: BEFE0124
	v_mov_b32_e32 v6, v58                                      // 0000000100DC: 7E0C033A
	s_mov_b64 s[60:61], 0                                      // 0000000100E0: BEBC0180
	v_readlane_b32 s82, v3, 8                                  // 0000000100E4: D2890052 00011103
	s_and_b32 s82, s82, 0xffffff                               // 0000000100EC: 8652FF52 00FFFFFF
	s_cmp_lt_u32 s82, s66                                      // 0000000100F4: BF0A4252
	s_cselect_b32 s20, s36, s60                                // 0000000100F8: 85143C24
	v_readlane_b32 s82, v3, 9                                  // 0000000100FC: D2890052 00011303
	s_and_b32 s82, s82, 0xffffff                               // 000000010104: 8652FF52 00FFFFFF
	s_cmp_lt_u32 s82, s66                                      // 00000001010C: BF0A4252
	s_cselect_b32 s21, s36, s60                                // 000000010110: 85153C24
	s_mov_b64 exec, s[20:21]                                   // 000000010114: BEFE0114
	global_atomic_add_f32 v6, v86, s[8:9] offset:8             // 000000010118: DD348008 00085606
	global_atomic_add_f32 v6, v90, s[8:9] offset:264           // 000000010120: DD348108 00085A06
	s_mov_b64 exec, s[36:37]                                   // 000000010128: BEFE0124
	v_mov_b32_e32 v6, v59                                      // 00000001012C: 7E0C033B
	s_mov_b64 s[60:61], 0                                      // 000000010130: BEBC0180
	v_readlane_b32 s82, v3, 10                                 // 000000010134: D2890052 00011503
	s_and_b32 s82, s82, 0xffffff                               // 00000001013C: 8652FF52 00FFFFFF
	s_cmp_lt_u32 s82, s66                                      // 000000010144: BF0A4252
	s_cselect_b32 s20, s36, s60                                // 000000010148: 85143C24
	v_readlane_b32 s82, v3, 11                                 // 00000001014C: D2890052 00011703
	s_and_b32 s82, s82, 0xffffff                               // 000000010154: 8652FF52 00FFFFFF
	s_cmp_lt_u32 s82, s66                                      // 00000001015C: BF0A4252
	s_cselect_b32 s21, s36, s60                                // 000000010160: 85153C24
	s_mov_b64 exec, s[20:21]                                   // 000000010164: BEFE0114
	global_atomic_add_f32 v6, v87, s[8:9] offset:8             // 000000010168: DD348008 00085706
	global_atomic_add_f32 v6, v91, s[8:9] offset:264           // 000000010170: DD348108 00085B06
	s_mov_b64 exec, s[36:37]                                   // 000000010178: BEFE0124
	v_mov_b32_e32 v6, v60                                      // 00000001017C: 7E0C033C
	s_mov_b64 s[60:61], 0                                      // 000000010180: BEBC0180
	v_readlane_b32 s82, v3, 12                                 // 000000010184: D2890052 00011903
	s_and_b32 s82, s82, 0xffffff                               // 00000001018C: 8652FF52 00FFFFFF
	s_cmp_lt_u32 s82, s66                                      // 000000010194: BF0A4252
	s_cselect_b32 s20, s36, s60                                // 000000010198: 85143C24
	v_readlane_b32 s82, v3, 13                                 // 00000001019C: D2890052 00011B03
	s_and_b32 s82, s82, 0xffffff                               // 0000000101A4: 8652FF52 00FFFFFF
	s_cmp_lt_u32 s82, s66                                      // 0000000101AC: BF0A4252
	s_cselect_b32 s21, s36, s60                                // 0000000101B0: 85153C24
	s_mov_b64 exec, s[20:21]                                   // 0000000101B4: BEFE0114
	global_atomic_add_f32 v6, v94, s[8:9] offset:8             // 0000000101B8: DD348008 00085E06
	global_atomic_add_f32 v6, v98, s[8:9] offset:264           // 0000000101C0: DD348108 00086206
	s_mov_b64 exec, s[36:37]                                   // 0000000101C8: BEFE0124
	v_mov_b32_e32 v6, v61                                      // 0000000101CC: 7E0C033D
	s_mov_b64 s[60:61], 0                                      // 0000000101D0: BEBC0180
	v_readlane_b32 s82, v3, 14                                 // 0000000101D4: D2890052 00011D03
	s_and_b32 s82, s82, 0xffffff                               // 0000000101DC: 8652FF52 00FFFFFF
	s_cmp_lt_u32 s82, s66                                      // 0000000101E4: BF0A4252
	s_cselect_b32 s20, s36, s60                                // 0000000101E8: 85143C24
	v_readlane_b32 s82, v3, 15                                 // 0000000101EC: D2890052 00011F03
	s_and_b32 s82, s82, 0xffffff                               // 0000000101F4: 8652FF52 00FFFFFF
	s_cmp_lt_u32 s82, s66                                      // 0000000101FC: BF0A4252
	s_cselect_b32 s21, s36, s60                                // 000000010200: 85153C24
	s_mov_b64 exec, s[20:21]                                   // 000000010204: BEFE0114
	global_atomic_add_f32 v6, v95, s[8:9] offset:8             // 000000010208: DD348008 00085F06
	global_atomic_add_f32 v6, v99, s[8:9] offset:264           // 000000010210: DD348108 00086306
	s_mov_b64 exec, s[36:37]                                   // 000000010218: BEFE0124
	v_mov_b32_e32 v6, v62                                      // 00000001021C: 7E0C033E
	s_mov_b64 s[60:61], 0                                      // 000000010220: BEBC0180
	v_readlane_b32 s82, v3, 16                                 // 000000010224: D2890052 00012103
	s_and_b32 s82, s82, 0xffffff                               // 00000001022C: 8652FF52 00FFFFFF
	s_cmp_lt_u32 s82, s66                                      // 000000010234: BF0A4252
	s_cselect_b32 s20, s36, s60                                // 000000010238: 85143C24
	v_readlane_b32 s82, v3, 17                                 // 00000001023C: D2890052 00012303
	s_and_b32 s82, s82, 0xffffff                               // 000000010244: 8652FF52 00FFFFFF
	s_cmp_lt_u32 s82, s66                                      // 00000001024C: BF0A4252
	s_cselect_b32 s21, s36, s60                                // 000000010250: 85153C24
	s_mov_b64 exec, s[20:21]                                   // 000000010254: BEFE0114
	global_atomic_add_f32 v6, v102, s[8:9] offset:8            // 000000010258: DD348008 00086606
	global_atomic_add_f32 v6, v106, s[8:9] offset:264          // 000000010260: DD348108 00086A06
	s_mov_b64 exec, s[36:37]                                   // 000000010268: BEFE0124
	v_mov_b32_e32 v6, v63                                      // 00000001026C: 7E0C033F
	s_mov_b64 s[60:61], 0                                      // 000000010270: BEBC0180
	v_readlane_b32 s82, v3, 18                                 // 000000010274: D2890052 00012503
	s_and_b32 s82, s82, 0xffffff                               // 00000001027C: 8652FF52 00FFFFFF
	s_cmp_lt_u32 s82, s66                                      // 000000010284: BF0A4252
	s_cselect_b32 s20, s36, s60                                // 000000010288: 85143C24
	v_readlane_b32 s82, v3, 19                                 // 00000001028C: D2890052 00012703
	s_and_b32 s82, s82, 0xffffff                               // 000000010294: 8652FF52 00FFFFFF
	s_cmp_lt_u32 s82, s66                                      // 00000001029C: BF0A4252
	s_cselect_b32 s21, s36, s60                                // 0000000102A0: 85153C24
	s_mov_b64 exec, s[20:21]                                   // 0000000102A4: BEFE0114
	global_atomic_add_f32 v6, v103, s[8:9] offset:8            // 0000000102A8: DD348008 00086706
	global_atomic_add_f32 v6, v107, s[8:9] offset:264          // 0000000102B0: DD348108 00086B06
	s_mov_b64 exec, s[36:37]                                   // 0000000102B8: BEFE0124
	v_mov_b32_e32 v6, v64                                      // 0000000102BC: 7E0C0340
	s_mov_b64 s[60:61], 0                                      // 0000000102C0: BEBC0180
	v_readlane_b32 s82, v3, 20                                 // 0000000102C4: D2890052 00012903
	s_and_b32 s82, s82, 0xffffff                               // 0000000102CC: 8652FF52 00FFFFFF
	s_cmp_lt_u32 s82, s66                                      // 0000000102D4: BF0A4252
	s_cselect_b32 s20, s36, s60                                // 0000000102D8: 85143C24
	v_readlane_b32 s82, v3, 21                                 // 0000000102DC: D2890052 00012B03
	s_and_b32 s82, s82, 0xffffff                               // 0000000102E4: 8652FF52 00FFFFFF
	s_cmp_lt_u32 s82, s66                                      // 0000000102EC: BF0A4252
	s_cselect_b32 s21, s36, s60                                // 0000000102F0: 85153C24
	s_mov_b64 exec, s[20:21]                                   // 0000000102F4: BEFE0114
	global_atomic_add_f32 v6, v110, s[8:9] offset:8            // 0000000102F8: DD348008 00086E06
	global_atomic_add_f32 v6, v114, s[8:9] offset:264          // 000000010300: DD348108 00087206
	s_mov_b64 exec, s[36:37]                                   // 000000010308: BEFE0124
	v_mov_b32_e32 v6, v65                                      // 00000001030C: 7E0C0341
	s_mov_b64 s[60:61], 0                                      // 000000010310: BEBC0180
	v_readlane_b32 s82, v3, 22                                 // 000000010314: D2890052 00012D03
	s_and_b32 s82, s82, 0xffffff                               // 00000001031C: 8652FF52 00FFFFFF
	s_cmp_lt_u32 s82, s66                                      // 000000010324: BF0A4252
	s_cselect_b32 s20, s36, s60                                // 000000010328: 85143C24
	v_readlane_b32 s82, v3, 23                                 // 00000001032C: D2890052 00012F03
	s_and_b32 s82, s82, 0xffffff                               // 000000010334: 8652FF52 00FFFFFF
	s_cmp_lt_u32 s82, s66                                      // 00000001033C: BF0A4252
	s_cselect_b32 s21, s36, s60                                // 000000010340: 85153C24
	s_mov_b64 exec, s[20:21]                                   // 000000010344: BEFE0114
	global_atomic_add_f32 v6, v111, s[8:9] offset:8            // 000000010348: DD348008 00086F06
	global_atomic_add_f32 v6, v115, s[8:9] offset:264          // 000000010350: DD348108 00087306
	s_mov_b64 exec, s[36:37]                                   // 000000010358: BEFE0124
	ds_write_b64 v20, v[116:117]                               // 00000001035C: D89A0000 00007414
	ds_write_b64 v20, v[120:121] offset:4352                   // 000000010364: D89A1100 00007814
	ds_write_b64 v20, v[124:125] offset:8704                   // 00000001036C: D89A2200 00007C14
	ds_write_b64 v20, v[128:129] offset:13056                  // 000000010374: D89A3300 00008014
	ds_write_b64 v20, v[132:133] offset:17408                  // 00000001037C: D89A4400 00008414
	ds_write_b64 v20, v[136:137] offset:21760                  // 000000010384: D89A5500 00008814
	ds_write_b64 v20, v[140:141] offset:2176                   // 00000001038C: D89A0880 00008C14
	ds_write_b64 v20, v[144:145] offset:6528                   // 000000010394: D89A1980 00009014
	ds_write_b64 v20, v[148:149] offset:10880                  // 00000001039C: D89A2A80 00009414
	ds_write_b64 v20, v[152:153] offset:15232                  // 0000000103A4: D89A3B80 00009814
	ds_write_b64 v20, v[156:157] offset:19584                  // 0000000103AC: D89A4C80 00009C14
	ds_write_b64 v20, v[160:161] offset:23936                  // 0000000103B4: D89A5D80 0000A014
	s_waitcnt lgkmcnt(0)                                       // 0000000103BC: BF8CC07F
	s_barrier                                                  // 0000000103C0: BF8A0000
	ds_read_b32 v116, v21                                      // 0000000103C4: D86C0000 74000015
	ds_read_b32 v117, v21 offset:64                            // 0000000103CC: D86C0040 75000015
	ds_read_b32 v120, v21 offset:2176                          // 0000000103D4: D86C0880 78000015
	ds_read_b32 v121, v21 offset:2240                          // 0000000103DC: D86C08C0 79000015
	ds_read_b32 v124, v21 offset:4352                          // 0000000103E4: D86C1100 7C000015
	ds_read_b32 v125, v21 offset:4416                          // 0000000103EC: D86C1140 7D000015
	ds_read_b32 v128, v21 offset:6528                          // 0000000103F4: D86C1980 80000015
	ds_read_b32 v129, v21 offset:6592                          // 0000000103FC: D86C19C0 81000015
	ds_read_b32 v132, v21 offset:8704                          // 000000010404: D86C2200 84000015
	ds_read_b32 v133, v21 offset:8768                          // 00000001040C: D86C2240 85000015
	ds_read_b32 v136, v21 offset:10880                         // 000000010414: D86C2A80 88000015
	ds_read_b32 v137, v21 offset:10944                         // 00000001041C: D86C2AC0 89000015
	ds_read_b32 v140, v21 offset:13056                         // 000000010424: D86C3300 8C000015
	ds_read_b32 v141, v21 offset:13120                         // 00000001042C: D86C3340 8D000015
	ds_read_b32 v144, v21 offset:15232                         // 000000010434: D86C3B80 90000015
	ds_read_b32 v145, v21 offset:15296                         // 00000001043C: D86C3BC0 91000015
	ds_read_b32 v148, v21 offset:17408                         // 000000010444: D86C4400 94000015
	ds_read_b32 v149, v21 offset:17472                         // 00000001044C: D86C4440 95000015
	ds_read_b32 v152, v21 offset:19584                         // 000000010454: D86C4C80 98000015
	ds_read_b32 v153, v21 offset:19648                         // 00000001045C: D86C4CC0 99000015
	ds_read_b32 v156, v21 offset:21760                         // 000000010464: D86C5500 9C000015
	ds_read_b32 v157, v21 offset:21824                         // 00000001046C: D86C5540 9D000015
	ds_read_b32 v160, v21 offset:23936                         // 000000010474: D86C5D80 A0000015
	ds_read_b32 v161, v21 offset:24000                         // 00000001047C: D86C5DC0 A1000015
	s_mul_i32 s60, s65, 4                                      // 000000010484: 923C8441
	s_add_u32 s8, s60, s8                                      // 000000010488: 8008083C
	s_addc_u32 s9, 0, s9                                       // 00000001048C: 82090980
	s_waitcnt lgkmcnt(0)                                       // 000000010490: BF8CC07F
	v_mov_b32_e32 v7, 0                                        // 000000010494: 7E0E0280
	s_mov_b64 exec, s[36:37]                                   // 000000010498: BEFE0124
	v_mov_b32_e32 v6, v54                                      // 00000001049C: 7E0C0336
	s_mov_b64 s[60:61], 0                                      // 0000000104A0: BEBC0180
	v_readlane_b32 s82, v3, 0                                  // 0000000104A4: D2890052 00010103
	s_and_b32 s82, s82, 0xffffff                               // 0000000104AC: 8652FF52 00FFFFFF
	s_cmp_lt_u32 s82, s66                                      // 0000000104B4: BF0A4252
	s_cselect_b32 s20, s36, s60                                // 0000000104B8: 85143C24
	v_readlane_b32 s82, v3, 1                                  // 0000000104BC: D2890052 00010303
	s_and_b32 s82, s82, 0xffffff                               // 0000000104C4: 8652FF52 00FFFFFF
	s_cmp_lt_u32 s82, s66                                      // 0000000104CC: BF0A4252
	s_cselect_b32 s21, s36, s60                                // 0000000104D0: 85153C24
	s_mov_b64 exec, s[20:21]                                   // 0000000104D4: BEFE0114
	global_atomic_add_f32 v6, v116, s[8:9]                     // 0000000104D8: DD348000 00087406
	global_atomic_add_f32 v6, v120, s[8:9] offset:256          // 0000000104E0: DD348100 00087806
	s_mov_b64 exec, s[36:37]                                   // 0000000104E8: BEFE0124
	v_mov_b32_e32 v6, v55                                      // 0000000104EC: 7E0C0337
	s_mov_b64 s[60:61], 0                                      // 0000000104F0: BEBC0180
	v_readlane_b32 s82, v3, 2                                  // 0000000104F4: D2890052 00010503
	s_and_b32 s82, s82, 0xffffff                               // 0000000104FC: 8652FF52 00FFFFFF
	s_cmp_lt_u32 s82, s66                                      // 000000010504: BF0A4252
	s_cselect_b32 s20, s36, s60                                // 000000010508: 85143C24
	v_readlane_b32 s82, v3, 3                                  // 00000001050C: D2890052 00010703
	s_and_b32 s82, s82, 0xffffff                               // 000000010514: 8652FF52 00FFFFFF
	s_cmp_lt_u32 s82, s66                                      // 00000001051C: BF0A4252
	s_cselect_b32 s21, s36, s60                                // 000000010520: 85153C24
	s_mov_b64 exec, s[20:21]                                   // 000000010524: BEFE0114
	global_atomic_add_f32 v6, v117, s[8:9]                     // 000000010528: DD348000 00087506
	global_atomic_add_f32 v6, v121, s[8:9] offset:256          // 000000010530: DD348100 00087906
	s_mov_b64 exec, s[36:37]                                   // 000000010538: BEFE0124
	v_mov_b32_e32 v6, v56                                      // 00000001053C: 7E0C0338
	s_mov_b64 s[60:61], 0                                      // 000000010540: BEBC0180
	v_readlane_b32 s82, v3, 4                                  // 000000010544: D2890052 00010903
	s_and_b32 s82, s82, 0xffffff                               // 00000001054C: 8652FF52 00FFFFFF
	s_cmp_lt_u32 s82, s66                                      // 000000010554: BF0A4252
	s_cselect_b32 s20, s36, s60                                // 000000010558: 85143C24
	v_readlane_b32 s82, v3, 5                                  // 00000001055C: D2890052 00010B03
	s_and_b32 s82, s82, 0xffffff                               // 000000010564: 8652FF52 00FFFFFF
	s_cmp_lt_u32 s82, s66                                      // 00000001056C: BF0A4252
	s_cselect_b32 s21, s36, s60                                // 000000010570: 85153C24
	s_mov_b64 exec, s[20:21]                                   // 000000010574: BEFE0114
	global_atomic_add_f32 v6, v124, s[8:9]                     // 000000010578: DD348000 00087C06
	global_atomic_add_f32 v6, v128, s[8:9] offset:256          // 000000010580: DD348100 00088006
	s_mov_b64 exec, s[36:37]                                   // 000000010588: BEFE0124
	v_mov_b32_e32 v6, v57                                      // 00000001058C: 7E0C0339
	s_mov_b64 s[60:61], 0                                      // 000000010590: BEBC0180
	v_readlane_b32 s82, v3, 6                                  // 000000010594: D2890052 00010D03
	s_and_b32 s82, s82, 0xffffff                               // 00000001059C: 8652FF52 00FFFFFF
	s_cmp_lt_u32 s82, s66                                      // 0000000105A4: BF0A4252
	s_cselect_b32 s20, s36, s60                                // 0000000105A8: 85143C24
	v_readlane_b32 s82, v3, 7                                  // 0000000105AC: D2890052 00010F03
	s_and_b32 s82, s82, 0xffffff                               // 0000000105B4: 8652FF52 00FFFFFF
	s_cmp_lt_u32 s82, s66                                      // 0000000105BC: BF0A4252
	s_cselect_b32 s21, s36, s60                                // 0000000105C0: 85153C24
	s_mov_b64 exec, s[20:21]                                   // 0000000105C4: BEFE0114
	global_atomic_add_f32 v6, v125, s[8:9]                     // 0000000105C8: DD348000 00087D06
	global_atomic_add_f32 v6, v129, s[8:9] offset:256          // 0000000105D0: DD348100 00088106
	s_mov_b64 exec, s[36:37]                                   // 0000000105D8: BEFE0124
	v_mov_b32_e32 v6, v58                                      // 0000000105DC: 7E0C033A
	s_mov_b64 s[60:61], 0                                      // 0000000105E0: BEBC0180
	v_readlane_b32 s82, v3, 8                                  // 0000000105E4: D2890052 00011103
	s_and_b32 s82, s82, 0xffffff                               // 0000000105EC: 8652FF52 00FFFFFF
	s_cmp_lt_u32 s82, s66                                      // 0000000105F4: BF0A4252
	s_cselect_b32 s20, s36, s60                                // 0000000105F8: 85143C24
	v_readlane_b32 s82, v3, 9                                  // 0000000105FC: D2890052 00011303
	s_and_b32 s82, s82, 0xffffff                               // 000000010604: 8652FF52 00FFFFFF
	s_cmp_lt_u32 s82, s66                                      // 00000001060C: BF0A4252
	s_cselect_b32 s21, s36, s60                                // 000000010610: 85153C24
	s_mov_b64 exec, s[20:21]                                   // 000000010614: BEFE0114
	global_atomic_add_f32 v6, v132, s[8:9]                     // 000000010618: DD348000 00088406
	global_atomic_add_f32 v6, v136, s[8:9] offset:256          // 000000010620: DD348100 00088806
	s_mov_b64 exec, s[36:37]                                   // 000000010628: BEFE0124
	v_mov_b32_e32 v6, v59                                      // 00000001062C: 7E0C033B
	s_mov_b64 s[60:61], 0                                      // 000000010630: BEBC0180
	v_readlane_b32 s82, v3, 10                                 // 000000010634: D2890052 00011503
	s_and_b32 s82, s82, 0xffffff                               // 00000001063C: 8652FF52 00FFFFFF
	s_cmp_lt_u32 s82, s66                                      // 000000010644: BF0A4252
	s_cselect_b32 s20, s36, s60                                // 000000010648: 85143C24
	v_readlane_b32 s82, v3, 11                                 // 00000001064C: D2890052 00011703
	s_and_b32 s82, s82, 0xffffff                               // 000000010654: 8652FF52 00FFFFFF
	s_cmp_lt_u32 s82, s66                                      // 00000001065C: BF0A4252
	s_cselect_b32 s21, s36, s60                                // 000000010660: 85153C24
	s_mov_b64 exec, s[20:21]                                   // 000000010664: BEFE0114
	global_atomic_add_f32 v6, v133, s[8:9]                     // 000000010668: DD348000 00088506
	global_atomic_add_f32 v6, v137, s[8:9] offset:256          // 000000010670: DD348100 00088906
	s_mov_b64 exec, s[36:37]                                   // 000000010678: BEFE0124
	v_mov_b32_e32 v6, v60                                      // 00000001067C: 7E0C033C
	s_mov_b64 s[60:61], 0                                      // 000000010680: BEBC0180
	v_readlane_b32 s82, v3, 12                                 // 000000010684: D2890052 00011903
	s_and_b32 s82, s82, 0xffffff                               // 00000001068C: 8652FF52 00FFFFFF
	s_cmp_lt_u32 s82, s66                                      // 000000010694: BF0A4252
	s_cselect_b32 s20, s36, s60                                // 000000010698: 85143C24
	v_readlane_b32 s82, v3, 13                                 // 00000001069C: D2890052 00011B03
	s_and_b32 s82, s82, 0xffffff                               // 0000000106A4: 8652FF52 00FFFFFF
	s_cmp_lt_u32 s82, s66                                      // 0000000106AC: BF0A4252
	s_cselect_b32 s21, s36, s60                                // 0000000106B0: 85153C24
	s_mov_b64 exec, s[20:21]                                   // 0000000106B4: BEFE0114
	global_atomic_add_f32 v6, v140, s[8:9]                     // 0000000106B8: DD348000 00088C06
	global_atomic_add_f32 v6, v144, s[8:9] offset:256          // 0000000106C0: DD348100 00089006
	s_mov_b64 exec, s[36:37]                                   // 0000000106C8: BEFE0124
	v_mov_b32_e32 v6, v61                                      // 0000000106CC: 7E0C033D
	s_mov_b64 s[60:61], 0                                      // 0000000106D0: BEBC0180
	v_readlane_b32 s82, v3, 14                                 // 0000000106D4: D2890052 00011D03
	s_and_b32 s82, s82, 0xffffff                               // 0000000106DC: 8652FF52 00FFFFFF
	s_cmp_lt_u32 s82, s66                                      // 0000000106E4: BF0A4252
	s_cselect_b32 s20, s36, s60                                // 0000000106E8: 85143C24
	v_readlane_b32 s82, v3, 15                                 // 0000000106EC: D2890052 00011F03
	s_and_b32 s82, s82, 0xffffff                               // 0000000106F4: 8652FF52 00FFFFFF
	s_cmp_lt_u32 s82, s66                                      // 0000000106FC: BF0A4252
	s_cselect_b32 s21, s36, s60                                // 000000010700: 85153C24
	s_mov_b64 exec, s[20:21]                                   // 000000010704: BEFE0114
	global_atomic_add_f32 v6, v141, s[8:9]                     // 000000010708: DD348000 00088D06
	global_atomic_add_f32 v6, v145, s[8:9] offset:256          // 000000010710: DD348100 00089106
	s_mov_b64 exec, s[36:37]                                   // 000000010718: BEFE0124
	v_mov_b32_e32 v6, v62                                      // 00000001071C: 7E0C033E
	s_mov_b64 s[60:61], 0                                      // 000000010720: BEBC0180
	v_readlane_b32 s82, v3, 16                                 // 000000010724: D2890052 00012103
	s_and_b32 s82, s82, 0xffffff                               // 00000001072C: 8652FF52 00FFFFFF
	s_cmp_lt_u32 s82, s66                                      // 000000010734: BF0A4252
	s_cselect_b32 s20, s36, s60                                // 000000010738: 85143C24
	v_readlane_b32 s82, v3, 17                                 // 00000001073C: D2890052 00012303
	s_and_b32 s82, s82, 0xffffff                               // 000000010744: 8652FF52 00FFFFFF
	s_cmp_lt_u32 s82, s66                                      // 00000001074C: BF0A4252
	s_cselect_b32 s21, s36, s60                                // 000000010750: 85153C24
	s_mov_b64 exec, s[20:21]                                   // 000000010754: BEFE0114
	global_atomic_add_f32 v6, v148, s[8:9]                     // 000000010758: DD348000 00089406
	global_atomic_add_f32 v6, v152, s[8:9] offset:256          // 000000010760: DD348100 00089806
	s_mov_b64 exec, s[36:37]                                   // 000000010768: BEFE0124
	v_mov_b32_e32 v6, v63                                      // 00000001076C: 7E0C033F
	s_mov_b64 s[60:61], 0                                      // 000000010770: BEBC0180
	v_readlane_b32 s82, v3, 18                                 // 000000010774: D2890052 00012503
	s_and_b32 s82, s82, 0xffffff                               // 00000001077C: 8652FF52 00FFFFFF
	s_cmp_lt_u32 s82, s66                                      // 000000010784: BF0A4252
	s_cselect_b32 s20, s36, s60                                // 000000010788: 85143C24
	v_readlane_b32 s82, v3, 19                                 // 00000001078C: D2890052 00012703
	s_and_b32 s82, s82, 0xffffff                               // 000000010794: 8652FF52 00FFFFFF
	s_cmp_lt_u32 s82, s66                                      // 00000001079C: BF0A4252
	s_cselect_b32 s21, s36, s60                                // 0000000107A0: 85153C24
	s_mov_b64 exec, s[20:21]                                   // 0000000107A4: BEFE0114
	global_atomic_add_f32 v6, v149, s[8:9]                     // 0000000107A8: DD348000 00089506
	global_atomic_add_f32 v6, v153, s[8:9] offset:256          // 0000000107B0: DD348100 00089906
	s_mov_b64 exec, s[36:37]                                   // 0000000107B8: BEFE0124
	v_mov_b32_e32 v6, v64                                      // 0000000107BC: 7E0C0340
	s_mov_b64 s[60:61], 0                                      // 0000000107C0: BEBC0180
	v_readlane_b32 s82, v3, 20                                 // 0000000107C4: D2890052 00012903
	s_and_b32 s82, s82, 0xffffff                               // 0000000107CC: 8652FF52 00FFFFFF
	s_cmp_lt_u32 s82, s66                                      // 0000000107D4: BF0A4252
	s_cselect_b32 s20, s36, s60                                // 0000000107D8: 85143C24
	v_readlane_b32 s82, v3, 21                                 // 0000000107DC: D2890052 00012B03
	s_and_b32 s82, s82, 0xffffff                               // 0000000107E4: 8652FF52 00FFFFFF
	s_cmp_lt_u32 s82, s66                                      // 0000000107EC: BF0A4252
	s_cselect_b32 s21, s36, s60                                // 0000000107F0: 85153C24
	s_mov_b64 exec, s[20:21]                                   // 0000000107F4: BEFE0114
	global_atomic_add_f32 v6, v156, s[8:9]                     // 0000000107F8: DD348000 00089C06
	global_atomic_add_f32 v6, v160, s[8:9] offset:256          // 000000010800: DD348100 0008A006
	s_mov_b64 exec, s[36:37]                                   // 000000010808: BEFE0124
	v_mov_b32_e32 v6, v65                                      // 00000001080C: 7E0C0341
	s_mov_b64 s[60:61], 0                                      // 000000010810: BEBC0180
	v_readlane_b32 s82, v3, 22                                 // 000000010814: D2890052 00012D03
	s_and_b32 s82, s82, 0xffffff                               // 00000001081C: 8652FF52 00FFFFFF
	s_cmp_lt_u32 s82, s66                                      // 000000010824: BF0A4252
	s_cselect_b32 s20, s36, s60                                // 000000010828: 85143C24
	v_readlane_b32 s82, v3, 23                                 // 00000001082C: D2890052 00012F03
	s_and_b32 s82, s82, 0xffffff                               // 000000010834: 8652FF52 00FFFFFF
	s_cmp_lt_u32 s82, s66                                      // 00000001083C: BF0A4252
	s_cselect_b32 s21, s36, s60                                // 000000010840: 85153C24
	s_mov_b64 exec, s[20:21]                                   // 000000010844: BEFE0114
	global_atomic_add_f32 v6, v157, s[8:9]                     // 000000010848: DD348000 00089D06
	global_atomic_add_f32 v6, v161, s[8:9] offset:256          // 000000010850: DD348100 0008A106
	s_mov_b64 exec, s[36:37]                                   // 000000010858: BEFE0124
	ds_write_b64 v20, v[118:119]                               // 00000001085C: D89A0000 00007614
	ds_write_b64 v20, v[122:123] offset:4352                   // 000000010864: D89A1100 00007A14
	ds_write_b64 v20, v[126:127] offset:8704                   // 00000001086C: D89A2200 00007E14
	ds_write_b64 v20, v[130:131] offset:13056                  // 000000010874: D89A3300 00008214
	ds_write_b64 v20, v[134:135] offset:17408                  // 00000001087C: D89A4400 00008614
	ds_write_b64 v20, v[138:139] offset:21760                  // 000000010884: D89A5500 00008A14
	ds_write_b64 v20, v[142:143] offset:2176                   // 00000001088C: D89A0880 00008E14
	ds_write_b64 v20, v[146:147] offset:6528                   // 000000010894: D89A1980 00009214
	ds_write_b64 v20, v[150:151] offset:10880                  // 00000001089C: D89A2A80 00009614
	ds_write_b64 v20, v[154:155] offset:15232                  // 0000000108A4: D89A3B80 00009A14
	ds_write_b64 v20, v[158:159] offset:19584                  // 0000000108AC: D89A4C80 00009E14
	ds_write_b64 v20, v[162:163] offset:23936                  // 0000000108B4: D89A5D80 0000A214
	s_waitcnt lgkmcnt(0)                                       // 0000000108BC: BF8CC07F
	s_barrier                                                  // 0000000108C0: BF8A0000
	ds_read_b32 v118, v21                                      // 0000000108C4: D86C0000 76000015
	ds_read_b32 v119, v21 offset:64                            // 0000000108CC: D86C0040 77000015
	ds_read_b32 v122, v21 offset:2176                          // 0000000108D4: D86C0880 7A000015
	ds_read_b32 v123, v21 offset:2240                          // 0000000108DC: D86C08C0 7B000015
	ds_read_b32 v126, v21 offset:4352                          // 0000000108E4: D86C1100 7E000015
	ds_read_b32 v127, v21 offset:4416                          // 0000000108EC: D86C1140 7F000015
	ds_read_b32 v130, v21 offset:6528                          // 0000000108F4: D86C1980 82000015
	ds_read_b32 v131, v21 offset:6592                          // 0000000108FC: D86C19C0 83000015
	ds_read_b32 v134, v21 offset:8704                          // 000000010904: D86C2200 86000015
	ds_read_b32 v135, v21 offset:8768                          // 00000001090C: D86C2240 87000015
	ds_read_b32 v138, v21 offset:10880                         // 000000010914: D86C2A80 8A000015
	ds_read_b32 v139, v21 offset:10944                         // 00000001091C: D86C2AC0 8B000015
	ds_read_b32 v142, v21 offset:13056                         // 000000010924: D86C3300 8E000015
	ds_read_b32 v143, v21 offset:13120                         // 00000001092C: D86C3340 8F000015
	ds_read_b32 v146, v21 offset:15232                         // 000000010934: D86C3B80 92000015
	ds_read_b32 v147, v21 offset:15296                         // 00000001093C: D86C3BC0 93000015
	ds_read_b32 v150, v21 offset:17408                         // 000000010944: D86C4400 96000015
	ds_read_b32 v151, v21 offset:17472                         // 00000001094C: D86C4440 97000015
	ds_read_b32 v154, v21 offset:19584                         // 000000010954: D86C4C80 9A000015
	ds_read_b32 v155, v21 offset:19648                         // 00000001095C: D86C4CC0 9B000015
	ds_read_b32 v158, v21 offset:21760                         // 000000010964: D86C5500 9E000015
	ds_read_b32 v159, v21 offset:21824                         // 00000001096C: D86C5540 9F000015
	ds_read_b32 v162, v21 offset:23936                         // 000000010974: D86C5D80 A2000015
	ds_read_b32 v163, v21 offset:24000                         // 00000001097C: D86C5DC0 A3000015
	s_waitcnt lgkmcnt(0)                                       // 000000010984: BF8CC07F
	v_mov_b32_e32 v7, 0                                        // 000000010988: 7E0E0280
	s_mov_b64 exec, s[36:37]                                   // 00000001098C: BEFE0124
	v_mov_b32_e32 v6, v54                                      // 000000010990: 7E0C0336
	s_mov_b64 s[60:61], 0                                      // 000000010994: BEBC0180
	v_readlane_b32 s82, v3, 0                                  // 000000010998: D2890052 00010103
	s_and_b32 s82, s82, 0xffffff                               // 0000000109A0: 8652FF52 00FFFFFF
	s_cmp_lt_u32 s82, s66                                      // 0000000109A8: BF0A4252
	s_cselect_b32 s20, s36, s60                                // 0000000109AC: 85143C24
	v_readlane_b32 s82, v3, 1                                  // 0000000109B0: D2890052 00010303
	s_and_b32 s82, s82, 0xffffff                               // 0000000109B8: 8652FF52 00FFFFFF
	s_cmp_lt_u32 s82, s66                                      // 0000000109C0: BF0A4252
	s_cselect_b32 s21, s36, s60                                // 0000000109C4: 85153C24
	s_mov_b64 exec, s[20:21]                                   // 0000000109C8: BEFE0114
	global_atomic_add_f32 v6, v118, s[8:9] offset:8            // 0000000109CC: DD348008 00087606
	global_atomic_add_f32 v6, v122, s[8:9] offset:264          // 0000000109D4: DD348108 00087A06
	s_mov_b64 exec, s[36:37]                                   // 0000000109DC: BEFE0124
	v_mov_b32_e32 v6, v55                                      // 0000000109E0: 7E0C0337
	s_mov_b64 s[60:61], 0                                      // 0000000109E4: BEBC0180
	v_readlane_b32 s82, v3, 2                                  // 0000000109E8: D2890052 00010503
	s_and_b32 s82, s82, 0xffffff                               // 0000000109F0: 8652FF52 00FFFFFF
	s_cmp_lt_u32 s82, s66                                      // 0000000109F8: BF0A4252
	s_cselect_b32 s20, s36, s60                                // 0000000109FC: 85143C24
	v_readlane_b32 s82, v3, 3                                  // 000000010A00: D2890052 00010703
	s_and_b32 s82, s82, 0xffffff                               // 000000010A08: 8652FF52 00FFFFFF
	s_cmp_lt_u32 s82, s66                                      // 000000010A10: BF0A4252
	s_cselect_b32 s21, s36, s60                                // 000000010A14: 85153C24
	s_mov_b64 exec, s[20:21]                                   // 000000010A18: BEFE0114
	global_atomic_add_f32 v6, v119, s[8:9] offset:8            // 000000010A1C: DD348008 00087706
	global_atomic_add_f32 v6, v123, s[8:9] offset:264          // 000000010A24: DD348108 00087B06
	s_mov_b64 exec, s[36:37]                                   // 000000010A2C: BEFE0124
	v_mov_b32_e32 v6, v56                                      // 000000010A30: 7E0C0338
	s_mov_b64 s[60:61], 0                                      // 000000010A34: BEBC0180
	v_readlane_b32 s82, v3, 4                                  // 000000010A38: D2890052 00010903
	s_and_b32 s82, s82, 0xffffff                               // 000000010A40: 8652FF52 00FFFFFF
	s_cmp_lt_u32 s82, s66                                      // 000000010A48: BF0A4252
	s_cselect_b32 s20, s36, s60                                // 000000010A4C: 85143C24
	v_readlane_b32 s82, v3, 5                                  // 000000010A50: D2890052 00010B03
	s_and_b32 s82, s82, 0xffffff                               // 000000010A58: 8652FF52 00FFFFFF
	s_cmp_lt_u32 s82, s66                                      // 000000010A60: BF0A4252
	s_cselect_b32 s21, s36, s60                                // 000000010A64: 85153C24
	s_mov_b64 exec, s[20:21]                                   // 000000010A68: BEFE0114
	global_atomic_add_f32 v6, v126, s[8:9] offset:8            // 000000010A6C: DD348008 00087E06
	global_atomic_add_f32 v6, v130, s[8:9] offset:264          // 000000010A74: DD348108 00088206
	s_mov_b64 exec, s[36:37]                                   // 000000010A7C: BEFE0124
	v_mov_b32_e32 v6, v57                                      // 000000010A80: 7E0C0339
	s_mov_b64 s[60:61], 0                                      // 000000010A84: BEBC0180
	v_readlane_b32 s82, v3, 6                                  // 000000010A88: D2890052 00010D03
	s_and_b32 s82, s82, 0xffffff                               // 000000010A90: 8652FF52 00FFFFFF
	s_cmp_lt_u32 s82, s66                                      // 000000010A98: BF0A4252
	s_cselect_b32 s20, s36, s60                                // 000000010A9C: 85143C24
	v_readlane_b32 s82, v3, 7                                  // 000000010AA0: D2890052 00010F03
	s_and_b32 s82, s82, 0xffffff                               // 000000010AA8: 8652FF52 00FFFFFF
	s_cmp_lt_u32 s82, s66                                      // 000000010AB0: BF0A4252
	s_cselect_b32 s21, s36, s60                                // 000000010AB4: 85153C24
	s_mov_b64 exec, s[20:21]                                   // 000000010AB8: BEFE0114
	global_atomic_add_f32 v6, v127, s[8:9] offset:8            // 000000010ABC: DD348008 00087F06
	global_atomic_add_f32 v6, v131, s[8:9] offset:264          // 000000010AC4: DD348108 00088306
	s_mov_b64 exec, s[36:37]                                   // 000000010ACC: BEFE0124
	v_mov_b32_e32 v6, v58                                      // 000000010AD0: 7E0C033A
	s_mov_b64 s[60:61], 0                                      // 000000010AD4: BEBC0180
	v_readlane_b32 s82, v3, 8                                  // 000000010AD8: D2890052 00011103
	s_and_b32 s82, s82, 0xffffff                               // 000000010AE0: 8652FF52 00FFFFFF
	s_cmp_lt_u32 s82, s66                                      // 000000010AE8: BF0A4252
	s_cselect_b32 s20, s36, s60                                // 000000010AEC: 85143C24
	v_readlane_b32 s82, v3, 9                                  // 000000010AF0: D2890052 00011303
	s_and_b32 s82, s82, 0xffffff                               // 000000010AF8: 8652FF52 00FFFFFF
	s_cmp_lt_u32 s82, s66                                      // 000000010B00: BF0A4252
	s_cselect_b32 s21, s36, s60                                // 000000010B04: 85153C24
	s_mov_b64 exec, s[20:21]                                   // 000000010B08: BEFE0114
	global_atomic_add_f32 v6, v134, s[8:9] offset:8            // 000000010B0C: DD348008 00088606
	global_atomic_add_f32 v6, v138, s[8:9] offset:264          // 000000010B14: DD348108 00088A06
	s_mov_b64 exec, s[36:37]                                   // 000000010B1C: BEFE0124
	v_mov_b32_e32 v6, v59                                      // 000000010B20: 7E0C033B
	s_mov_b64 s[60:61], 0                                      // 000000010B24: BEBC0180
	v_readlane_b32 s82, v3, 10                                 // 000000010B28: D2890052 00011503
	s_and_b32 s82, s82, 0xffffff                               // 000000010B30: 8652FF52 00FFFFFF
	s_cmp_lt_u32 s82, s66                                      // 000000010B38: BF0A4252
	s_cselect_b32 s20, s36, s60                                // 000000010B3C: 85143C24
	v_readlane_b32 s82, v3, 11                                 // 000000010B40: D2890052 00011703
	s_and_b32 s82, s82, 0xffffff                               // 000000010B48: 8652FF52 00FFFFFF
	s_cmp_lt_u32 s82, s66                                      // 000000010B50: BF0A4252
	s_cselect_b32 s21, s36, s60                                // 000000010B54: 85153C24
	s_mov_b64 exec, s[20:21]                                   // 000000010B58: BEFE0114
	global_atomic_add_f32 v6, v135, s[8:9] offset:8            // 000000010B5C: DD348008 00088706
	global_atomic_add_f32 v6, v139, s[8:9] offset:264          // 000000010B64: DD348108 00088B06
	s_mov_b64 exec, s[36:37]                                   // 000000010B6C: BEFE0124
	v_mov_b32_e32 v6, v60                                      // 000000010B70: 7E0C033C
	s_mov_b64 s[60:61], 0                                      // 000000010B74: BEBC0180
	v_readlane_b32 s82, v3, 12                                 // 000000010B78: D2890052 00011903
	s_and_b32 s82, s82, 0xffffff                               // 000000010B80: 8652FF52 00FFFFFF
	s_cmp_lt_u32 s82, s66                                      // 000000010B88: BF0A4252
	s_cselect_b32 s20, s36, s60                                // 000000010B8C: 85143C24
	v_readlane_b32 s82, v3, 13                                 // 000000010B90: D2890052 00011B03
	s_and_b32 s82, s82, 0xffffff                               // 000000010B98: 8652FF52 00FFFFFF
	s_cmp_lt_u32 s82, s66                                      // 000000010BA0: BF0A4252
	s_cselect_b32 s21, s36, s60                                // 000000010BA4: 85153C24
	s_mov_b64 exec, s[20:21]                                   // 000000010BA8: BEFE0114
	global_atomic_add_f32 v6, v142, s[8:9] offset:8            // 000000010BAC: DD348008 00088E06
	global_atomic_add_f32 v6, v146, s[8:9] offset:264          // 000000010BB4: DD348108 00089206
	s_mov_b64 exec, s[36:37]                                   // 000000010BBC: BEFE0124
	v_mov_b32_e32 v6, v61                                      // 000000010BC0: 7E0C033D
	s_mov_b64 s[60:61], 0                                      // 000000010BC4: BEBC0180
	v_readlane_b32 s82, v3, 14                                 // 000000010BC8: D2890052 00011D03
	s_and_b32 s82, s82, 0xffffff                               // 000000010BD0: 8652FF52 00FFFFFF
	s_cmp_lt_u32 s82, s66                                      // 000000010BD8: BF0A4252
	s_cselect_b32 s20, s36, s60                                // 000000010BDC: 85143C24
	v_readlane_b32 s82, v3, 15                                 // 000000010BE0: D2890052 00011F03
	s_and_b32 s82, s82, 0xffffff                               // 000000010BE8: 8652FF52 00FFFFFF
	s_cmp_lt_u32 s82, s66                                      // 000000010BF0: BF0A4252
	s_cselect_b32 s21, s36, s60                                // 000000010BF4: 85153C24
	s_mov_b64 exec, s[20:21]                                   // 000000010BF8: BEFE0114
	global_atomic_add_f32 v6, v143, s[8:9] offset:8            // 000000010BFC: DD348008 00088F06
	global_atomic_add_f32 v6, v147, s[8:9] offset:264          // 000000010C04: DD348108 00089306
	s_mov_b64 exec, s[36:37]                                   // 000000010C0C: BEFE0124
	v_mov_b32_e32 v6, v62                                      // 000000010C10: 7E0C033E
	s_mov_b64 s[60:61], 0                                      // 000000010C14: BEBC0180
	v_readlane_b32 s82, v3, 16                                 // 000000010C18: D2890052 00012103
	s_and_b32 s82, s82, 0xffffff                               // 000000010C20: 8652FF52 00FFFFFF
	s_cmp_lt_u32 s82, s66                                      // 000000010C28: BF0A4252
	s_cselect_b32 s20, s36, s60                                // 000000010C2C: 85143C24
	v_readlane_b32 s82, v3, 17                                 // 000000010C30: D2890052 00012303
	s_and_b32 s82, s82, 0xffffff                               // 000000010C38: 8652FF52 00FFFFFF
	s_cmp_lt_u32 s82, s66                                      // 000000010C40: BF0A4252
	s_cselect_b32 s21, s36, s60                                // 000000010C44: 85153C24
	s_mov_b64 exec, s[20:21]                                   // 000000010C48: BEFE0114
	global_atomic_add_f32 v6, v150, s[8:9] offset:8            // 000000010C4C: DD348008 00089606
	global_atomic_add_f32 v6, v154, s[8:9] offset:264          // 000000010C54: DD348108 00089A06
	s_mov_b64 exec, s[36:37]                                   // 000000010C5C: BEFE0124
	v_mov_b32_e32 v6, v63                                      // 000000010C60: 7E0C033F
	s_mov_b64 s[60:61], 0                                      // 000000010C64: BEBC0180
	v_readlane_b32 s82, v3, 18                                 // 000000010C68: D2890052 00012503
	s_and_b32 s82, s82, 0xffffff                               // 000000010C70: 8652FF52 00FFFFFF
	s_cmp_lt_u32 s82, s66                                      // 000000010C78: BF0A4252
	s_cselect_b32 s20, s36, s60                                // 000000010C7C: 85143C24
	v_readlane_b32 s82, v3, 19                                 // 000000010C80: D2890052 00012703
	s_and_b32 s82, s82, 0xffffff                               // 000000010C88: 8652FF52 00FFFFFF
	s_cmp_lt_u32 s82, s66                                      // 000000010C90: BF0A4252
	s_cselect_b32 s21, s36, s60                                // 000000010C94: 85153C24
	s_mov_b64 exec, s[20:21]                                   // 000000010C98: BEFE0114
	global_atomic_add_f32 v6, v151, s[8:9] offset:8            // 000000010C9C: DD348008 00089706
	global_atomic_add_f32 v6, v155, s[8:9] offset:264          // 000000010CA4: DD348108 00089B06
	s_mov_b64 exec, s[36:37]                                   // 000000010CAC: BEFE0124
	v_mov_b32_e32 v6, v64                                      // 000000010CB0: 7E0C0340
	s_mov_b64 s[60:61], 0                                      // 000000010CB4: BEBC0180
	v_readlane_b32 s82, v3, 20                                 // 000000010CB8: D2890052 00012903
	s_and_b32 s82, s82, 0xffffff                               // 000000010CC0: 8652FF52 00FFFFFF
	s_cmp_lt_u32 s82, s66                                      // 000000010CC8: BF0A4252
	s_cselect_b32 s20, s36, s60                                // 000000010CCC: 85143C24
	v_readlane_b32 s82, v3, 21                                 // 000000010CD0: D2890052 00012B03
	s_and_b32 s82, s82, 0xffffff                               // 000000010CD8: 8652FF52 00FFFFFF
	s_cmp_lt_u32 s82, s66                                      // 000000010CE0: BF0A4252
	s_cselect_b32 s21, s36, s60                                // 000000010CE4: 85153C24
	s_mov_b64 exec, s[20:21]                                   // 000000010CE8: BEFE0114
	global_atomic_add_f32 v6, v158, s[8:9] offset:8            // 000000010CEC: DD348008 00089E06
	global_atomic_add_f32 v6, v162, s[8:9] offset:264          // 000000010CF4: DD348108 0008A206
	s_mov_b64 exec, s[36:37]                                   // 000000010CFC: BEFE0124
	v_mov_b32_e32 v6, v65                                      // 000000010D00: 7E0C0341
	s_mov_b64 s[60:61], 0                                      // 000000010D04: BEBC0180
	v_readlane_b32 s82, v3, 22                                 // 000000010D08: D2890052 00012D03
	s_and_b32 s82, s82, 0xffffff                               // 000000010D10: 8652FF52 00FFFFFF
	s_cmp_lt_u32 s82, s66                                      // 000000010D18: BF0A4252
	s_cselect_b32 s20, s36, s60                                // 000000010D1C: 85143C24
	v_readlane_b32 s82, v3, 23                                 // 000000010D20: D2890052 00012F03
	s_and_b32 s82, s82, 0xffffff                               // 000000010D28: 8652FF52 00FFFFFF
	s_cmp_lt_u32 s82, s66                                      // 000000010D30: BF0A4252
	s_cselect_b32 s21, s36, s60                                // 000000010D34: 85153C24
	s_mov_b64 exec, s[20:21]                                   // 000000010D38: BEFE0114
	global_atomic_add_f32 v6, v159, s[8:9] offset:8            // 000000010D3C: DD348008 00089F06
	global_atomic_add_f32 v6, v163, s[8:9] offset:264          // 000000010D44: DD348108 0008A306
	s_mov_b64 exec, s[36:37]                                   // 000000010D4C: BEFE0124
	s_branch label_38D8                                        // 000000010D50: BF820000

0000000000010d54 <label_38D8>:
	s_waitcnt vmcnt(0) expcnt(0) lgkmcnt(0)                    // 000000010D54: BF8C0000
	s_endpgm                                                   // 000000010D58: BF810000
